;; amdgpu-corpus repo=ROCm/rocFFT kind=compiled arch=gfx1030 opt=O3
	.text
	.amdgcn_target "amdgcn-amd-amdhsa--gfx1030"
	.amdhsa_code_object_version 6
	.protected	bluestein_single_fwd_len459_dim1_sp_op_CI_CI ; -- Begin function bluestein_single_fwd_len459_dim1_sp_op_CI_CI
	.globl	bluestein_single_fwd_len459_dim1_sp_op_CI_CI
	.p2align	8
	.type	bluestein_single_fwd_len459_dim1_sp_op_CI_CI,@function
bluestein_single_fwd_len459_dim1_sp_op_CI_CI: ; @bluestein_single_fwd_len459_dim1_sp_op_CI_CI
; %bb.0:
	s_mov_b64 s[18:19], s[2:3]
	s_mov_b64 s[16:17], s[0:1]
	s_load_dwordx4 s[0:3], s[4:5], 0x28
	v_mul_u32_u24_e32 v1, 0x506, v0
	s_add_u32 s16, s16, s7
	s_addc_u32 s17, s17, 0
	v_lshrrev_b32_e32 v1, 16, v1
	v_mad_u64_u32 v[48:49], null, s6, 5, v[1:2]
	v_mov_b32_e32 v49, 0
                                        ; kill: def $vgpr2 killed $sgpr0 killed $exec
	s_waitcnt lgkmcnt(0)
	v_cmp_gt_u64_e32 vcc_lo, s[0:1], v[48:49]
	s_and_saveexec_b32 s0, vcc_lo
	s_cbranch_execz .LBB0_15
; %bb.1:
	v_mul_hi_u32 v2, 0xcccccccd, v48
	s_clause 0x1
	s_load_dwordx2 s[12:13], s[4:5], 0x0
	s_load_dwordx2 s[14:15], s[4:5], 0x38
	v_mul_lo_u16 v1, v1, 51
	v_sub_nc_u16 v0, v0, v1
	v_lshrrev_b32_e32 v2, 2, v2
	v_and_b32_e32 v78, 0xffff, v0
	v_lshl_add_u32 v2, v2, 2, v2
	v_cmp_gt_u16_e32 vcc_lo, 27, v0
	v_lshlrev_b32_e32 v77, 3, v78
	v_sub_nc_u32_e32 v1, v48, v2
	v_mul_u32_u24_e32 v38, 0x1cb, v1
	v_lshlrev_b32_e32 v79, 3, v38
	s_and_saveexec_b32 s1, vcc_lo
	s_cbranch_execz .LBB0_3
; %bb.2:
	s_load_dwordx2 s[6:7], s[4:5], 0x18
	s_waitcnt lgkmcnt(0)
	v_add_co_u32 v26, s0, s12, v77
	v_add_co_ci_u32_e64 v27, null, s13, 0, s0
	v_add_nc_u32_e32 v47, v79, v77
	v_add_nc_u32_e32 v73, 0x400, v47
	;; [unrolled: 1-line block ×3, first 2 shown]
	s_load_dwordx4 s[8:11], s[6:7], 0x0
	s_waitcnt lgkmcnt(0)
	v_mad_u64_u32 v[0:1], null, s10, v48, 0
	v_mad_u64_u32 v[2:3], null, s8, v78, 0
	s_mul_i32 s6, s9, 0xd8
	s_mul_hi_u32 s7, s8, 0xd8
	s_add_i32 s7, s7, s6
	v_mad_u64_u32 v[4:5], null, s11, v48, v[1:2]
	s_clause 0x3
	global_load_dwordx2 v[5:6], v77, s[12:13]
	global_load_dwordx2 v[7:8], v77, s[12:13] offset:216
	global_load_dwordx2 v[9:10], v77, s[12:13] offset:432
	;; [unrolled: 1-line block ×3, first 2 shown]
	v_mad_u64_u32 v[13:14], null, s9, v78, v[3:4]
	v_mov_b32_e32 v1, v4
	s_clause 0x5
	global_load_dwordx2 v[14:15], v77, s[12:13] offset:864
	global_load_dwordx2 v[16:17], v77, s[12:13] offset:1080
	;; [unrolled: 1-line block ×6, first 2 shown]
	v_lshlrev_b64 v[0:1], 3, v[0:1]
	v_mov_b32_e32 v3, v13
	v_lshl_add_u32 v13, v78, 3, v79
	v_add_co_u32 v0, s0, s2, v0
	v_lshlrev_b64 v[2:3], 3, v[2:3]
	v_add_co_ci_u32_e64 v1, s0, s3, v1, s0
	s_mul_i32 s2, s8, 0xd8
	v_add_co_u32 v0, s0, v0, v2
	v_add_co_ci_u32_e64 v1, s0, v1, v3, s0
	v_add_co_u32 v2, s0, v0, s2
	v_add_co_ci_u32_e64 v3, s0, s7, v1, s0
	;; [unrolled: 2-line block ×4, first 2 shown]
	s_clause 0x3
	global_load_dwordx2 v[30:31], v[26:27], off offset:112
	global_load_dwordx2 v[32:33], v[26:27], off offset:328
	global_load_dwordx2 v[34:35], v[26:27], off offset:544
	global_load_dwordx2 v[36:37], v[26:27], off offset:760
	v_add_co_u32 v39, s0, v28, s2
	v_add_co_ci_u32_e64 v40, s0, s7, v29, s0
	global_load_dwordx2 v[41:42], v[26:27], off offset:976
	v_add_co_u32 v43, s0, v39, s2
	v_add_co_ci_u32_e64 v44, s0, s7, v40, s0
	s_clause 0x3
	global_load_dwordx2 v[0:1], v[0:1], off
	global_load_dwordx2 v[2:3], v[2:3], off
	;; [unrolled: 1-line block ×4, first 2 shown]
	v_add_co_u32 v45, s0, v43, s2
	v_add_co_ci_u32_e64 v46, s0, s7, v44, s0
	global_load_dwordx2 v[43:44], v[43:44], off
	v_add_co_u32 v49, s0, v45, s2
	v_add_co_ci_u32_e64 v50, s0, s7, v46, s0
	global_load_dwordx2 v[45:46], v[45:46], off
	;; [unrolled: 3-line block ×12, first 2 shown]
	s_clause 0x1
	global_load_dwordx2 v[71:72], v[26:27], off offset:1192
	global_load_dwordx2 v[26:27], v[26:27], off offset:1408
	global_load_dwordx2 v[69:70], v[69:70], off
	s_waitcnt vmcnt(18)
	v_mul_f32_e32 v4, v1, v6
	v_mul_f32_e32 v74, v0, v6
	s_waitcnt vmcnt(17)
	v_mul_f32_e32 v6, v3, v8
	v_mul_f32_e32 v8, v2, v8
	v_fmac_f32_e32 v4, v0, v5
	v_fma_f32 v5, v1, v5, -v74
	v_fmac_f32_e32 v6, v2, v7
	v_fma_f32 v7, v3, v7, -v8
	s_waitcnt vmcnt(16)
	v_mul_f32_e32 v0, v29, v10
	v_mul_f32_e32 v1, v28, v10
	s_waitcnt vmcnt(15)
	v_mul_f32_e32 v2, v40, v12
	v_mul_f32_e32 v3, v39, v12
	ds_write_b64 v13, v[4:5]
	s_waitcnt vmcnt(14)
	v_mul_f32_e32 v4, v44, v15
	v_mul_f32_e32 v5, v43, v15
	v_fmac_f32_e32 v0, v28, v9
	v_fma_f32 v1, v29, v9, -v1
	v_fmac_f32_e32 v2, v39, v11
	v_fma_f32 v3, v40, v11, -v3
	s_waitcnt vmcnt(13)
	v_mul_f32_e32 v8, v46, v17
	v_mul_f32_e32 v9, v45, v17
	s_waitcnt vmcnt(12)
	v_mul_f32_e32 v10, v50, v19
	v_mul_f32_e32 v11, v49, v19
	v_fmac_f32_e32 v4, v43, v14
	v_fma_f32 v5, v44, v14, -v5
	v_fmac_f32_e32 v8, v45, v16
	v_fma_f32 v9, v46, v16, -v9
	;; [unrolled: 2-line block ×3, first 2 shown]
	ds_write2_b64 v47, v[6:7], v[0:1] offset0:27 offset1:54
	ds_write2_b64 v47, v[2:3], v[4:5] offset0:81 offset1:108
	s_waitcnt vmcnt(11)
	v_mul_f32_e32 v0, v52, v21
	v_mul_f32_e32 v1, v51, v21
	s_waitcnt vmcnt(10)
	v_mul_f32_e32 v2, v54, v23
	v_mul_f32_e32 v3, v53, v23
	;; [unrolled: 3-line block ×3, first 2 shown]
	ds_write2_b64 v47, v[8:9], v[10:11] offset0:135 offset1:162
	s_waitcnt vmcnt(8)
	v_mul_f32_e32 v6, v58, v31
	v_mul_f32_e32 v7, v57, v31
	v_fmac_f32_e32 v0, v51, v20
	v_fma_f32 v1, v52, v20, -v1
	v_fmac_f32_e32 v2, v53, v22
	s_waitcnt vmcnt(7)
	v_mul_f32_e32 v8, v60, v33
	v_mul_f32_e32 v9, v59, v33
	v_fma_f32 v3, v54, v22, -v3
	v_fmac_f32_e32 v4, v55, v24
	v_fma_f32 v5, v56, v24, -v5
	s_waitcnt vmcnt(6)
	v_mul_f32_e32 v10, v62, v35
	v_mul_f32_e32 v11, v61, v35
	v_fmac_f32_e32 v6, v57, v30
	v_fma_f32 v7, v58, v30, -v7
	v_fmac_f32_e32 v8, v59, v32
	s_waitcnt vmcnt(5)
	v_mul_f32_e32 v12, v64, v37
	v_mul_f32_e32 v13, v63, v37
	v_fma_f32 v9, v60, v32, -v9
	v_fmac_f32_e32 v10, v61, v34
	v_fma_f32 v11, v62, v34, -v11
	s_waitcnt vmcnt(4)
	v_mul_f32_e32 v14, v66, v42
	v_mul_f32_e32 v15, v65, v42
	v_fmac_f32_e32 v12, v63, v36
	s_waitcnt vmcnt(2)
	v_mul_f32_e32 v16, v68, v72
	v_mul_f32_e32 v17, v67, v72
	s_waitcnt vmcnt(0)
	v_mul_f32_e32 v18, v70, v27
	v_mul_f32_e32 v19, v69, v27
	v_fma_f32 v13, v64, v36, -v13
	v_fmac_f32_e32 v14, v65, v41
	v_fma_f32 v15, v66, v41, -v15
	v_fmac_f32_e32 v16, v67, v71
	;; [unrolled: 2-line block ×3, first 2 shown]
	v_fma_f32 v19, v70, v26, -v19
	ds_write2_b64 v47, v[0:1], v[2:3] offset0:189 offset1:216
	ds_write2_b64 v73, v[4:5], v[6:7] offset0:115 offset1:142
	;; [unrolled: 1-line block ×5, first 2 shown]
.LBB0_3:
	s_or_b32 exec_lo, exec_lo, s1
	s_clause 0x1
	s_load_dwordx2 s[2:3], s[4:5], 0x20
	s_load_dwordx2 s[0:1], s[4:5], 0x8
	v_mov_b32_e32 v4, 0
	v_mov_b32_e32 v5, 0
	s_waitcnt lgkmcnt(0)
	s_barrier
	buffer_gl0_inv
                                        ; implicit-def: $vgpr22
                                        ; implicit-def: $vgpr8
                                        ; implicit-def: $vgpr12
                                        ; implicit-def: $vgpr16
                                        ; implicit-def: $vgpr36
                                        ; implicit-def: $vgpr26
                                        ; implicit-def: $vgpr30
                                        ; implicit-def: $vgpr34
	s_and_saveexec_b32 s4, vcc_lo
	s_cbranch_execz .LBB0_5
; %bb.4:
	v_lshl_add_u32 v0, v38, 3, v77
	v_add_nc_u32_e32 v1, 0x800, v0
	ds_read2_b64 v[4:7], v0 offset1:27
	ds_read2_b64 v[32:35], v0 offset0:54 offset1:81
	ds_read2_b64 v[28:31], v0 offset0:108 offset1:135
	;; [unrolled: 1-line block ×7, first 2 shown]
	ds_read_b64 v[36:37], v0 offset:3456
.LBB0_5:
	s_or_b32 exec_lo, exec_lo, s4
	s_waitcnt lgkmcnt(0)
	v_sub_f32_e32 v55, v7, v37
	v_add_f32_e32 v88, v36, v6
	v_sub_f32_e32 v56, v6, v36
	v_sub_f32_e32 v58, v33, v19
	v_add_f32_e32 v89, v37, v7
	v_mul_f32_e32 v40, 0xbeb8f4ab, v55
	v_add_f32_e32 v90, v18, v32
	v_sub_f32_e32 v57, v32, v18
	v_mul_f32_e32 v42, 0xbeb8f4ab, v56
	v_mul_f32_e32 v39, 0xbf2c7751, v58
	v_fmamk_f32 v0, v88, 0x3f6eb680, v40
	v_sub_f32_e32 v60, v35, v17
	v_add_f32_e32 v92, v19, v33
	v_mul_f32_e32 v41, 0xbf2c7751, v57
	v_fma_f32 v1, 0x3f6eb680, v89, -v42
	v_fmamk_f32 v2, v90, 0x3f3d2fb0, v39
	v_add_f32_e32 v0, v0, v4
	v_sub_f32_e32 v59, v34, v16
	v_add_f32_e32 v103, v16, v34
	v_mul_f32_e32 v43, 0xbf65296c, v60
	v_sub_f32_e32 v80, v29, v15
	v_fma_f32 v3, 0x3f3d2fb0, v92, -v41
	v_add_f32_e32 v1, v1, v5
	v_add_f32_e32 v0, v2, v0
	;; [unrolled: 1-line block ×3, first 2 shown]
	v_mul_f32_e32 v45, 0xbf65296c, v59
	v_fmamk_f32 v2, v103, 0x3ee437d1, v43
	v_add_f32_e32 v91, v14, v28
	v_mul_f32_e32 v44, 0xbf7ee86f, v80
	v_sub_f32_e32 v136, v28, v14
	v_sub_f32_e32 v137, v31, v13
	v_add_f32_e32 v1, v3, v1
	v_fma_f32 v3, 0x3ee437d1, v104, -v45
	v_add_f32_e32 v0, v2, v0
	v_fmamk_f32 v2, v91, 0x3dbcf732, v44
	v_add_f32_e32 v110, v15, v29
	v_mul_f32_e32 v47, 0xbf7ee86f, v136
	v_add_f32_e32 v100, v12, v30
	v_mul_f32_e32 v46, 0xbf763a35, v137
	v_sub_f32_e32 v138, v30, v12
	v_add_f32_e32 v1, v3, v1
	v_fma_f32 v3, 0x3dbcf732, v110, -v47
	v_add_f32_e32 v0, v2, v0
	v_fmamk_f32 v2, v100, 0xbe8c1d8e, v46
	v_add_f32_e32 v101, v13, v31
	v_mul_f32_e32 v61, 0xbf763a35, v138
	v_sub_f32_e32 v154, v25, v11
	v_sub_f32_e32 v155, v24, v10
	v_add_f32_e32 v1, v3, v1
	v_add_f32_e32 v0, v2, v0
	v_fma_f32 v2, 0xbe8c1d8e, v101, -v61
	v_add_f32_e32 v105, v10, v24
	v_mul_f32_e32 v62, 0xbf4c4adb, v154
	v_add_f32_e32 v106, v11, v25
	v_mul_f32_e32 v63, 0xbf4c4adb, v155
	v_sub_f32_e32 v156, v27, v9
	v_sub_f32_e32 v158, v26, v8
	v_add_f32_e32 v1, v2, v1
	v_fmamk_f32 v2, v105, 0xbf1a4643, v62
	v_fma_f32 v3, 0xbf1a4643, v106, -v63
	v_add_f32_e32 v112, v8, v26
	v_mul_f32_e32 v64, 0xbf06c442, v156
	v_add_f32_e32 v114, v9, v27
	v_mul_f32_e32 v65, 0xbf06c442, v158
	v_add_f32_e32 v0, v2, v0
	v_add_f32_e32 v1, v3, v1
	v_fmamk_f32 v2, v112, 0xbf59a7d5, v64
	v_mul_f32_e32 v72, 0xbf2c7751, v55
	v_fma_f32 v3, 0xbf59a7d5, v114, -v65
	v_mul_f32_e32 v84, 0xbf2c7751, v56
	v_mul_f32_e32 v73, 0xbf7ee86f, v58
	v_add_f32_e32 v0, v2, v0
	v_fmamk_f32 v2, v88, 0x3f3d2fb0, v72
	v_add_f32_e32 v1, v3, v1
	v_fma_f32 v3, 0x3f3d2fb0, v89, -v84
	v_mul_f32_e32 v86, 0xbf7ee86f, v57
	v_fmamk_f32 v49, v90, 0x3dbcf732, v73
	v_add_f32_e32 v2, v2, v4
	v_mul_f32_e32 v74, 0xbf4c4adb, v60
	v_add_f32_e32 v3, v3, v5
	v_fma_f32 v50, 0x3dbcf732, v92, -v86
	v_mul_f32_e32 v81, 0xbf4c4adb, v59
	v_add_f32_e32 v2, v49, v2
	v_fmamk_f32 v49, v103, 0xbf1a4643, v74
	v_mul_f32_e32 v75, 0xbe3c28d5, v80
	v_add_f32_e32 v3, v50, v3
	v_fma_f32 v50, 0xbf1a4643, v104, -v81
	v_mul_f32_e32 v82, 0xbe3c28d5, v136
	v_sub_f32_e32 v167, v21, v23
	v_add_f32_e32 v2, v49, v2
	v_fmamk_f32 v49, v91, 0xbf7ba420, v75
	v_add_f32_e32 v3, v50, v3
	v_fma_f32 v50, 0xbf7ba420, v110, -v82
	v_mul_f32_e32 v76, 0x3f06c442, v137
	v_mul_f32_e32 v85, 0x3f06c442, v138
	v_sub_f32_e32 v168, v20, v22
	v_add_f32_e32 v117, v22, v20
	v_mul_f32_e32 v66, 0xbe3c28d5, v167
	v_add_f32_e32 v2, v49, v2
	v_add_f32_e32 v3, v50, v3
	v_fmamk_f32 v49, v100, 0xbf59a7d5, v76
	v_fma_f32 v50, 0xbf59a7d5, v101, -v85
	v_mul_f32_e32 v68, 0x3f763a35, v154
	v_mul_f32_e32 v87, 0x3f763a35, v155
	v_add_f32_e32 v119, v23, v21
	v_mul_f32_e32 v67, 0xbe3c28d5, v168
	v_fmamk_f32 v51, v117, 0xbf7ba420, v66
	v_add_f32_e32 v49, v49, v2
	v_add_f32_e32 v3, v50, v3
	v_fmamk_f32 v50, v105, 0xbe8c1d8e, v68
	v_mul_f32_e32 v69, 0x3f65296c, v156
	v_fma_f32 v53, 0xbe8c1d8e, v106, -v87
	v_mul_f32_e32 v70, 0x3f65296c, v158
	v_fma_f32 v52, 0xbf7ba420, v119, -v67
	v_add_f32_e32 v2, v51, v0
	v_add_f32_e32 v0, v50, v49
	v_fmamk_f32 v49, v112, 0x3ee437d1, v69
	v_add_f32_e32 v50, v53, v3
	v_fma_f32 v51, 0x3ee437d1, v114, -v70
	v_mul_f32_e32 v95, 0xbf65296c, v55
	v_mul_f32_e32 v107, 0xbf65296c, v56
	v_add_f32_e32 v3, v52, v1
	v_add_f32_e32 v0, v49, v0
	;; [unrolled: 1-line block ×3, first 2 shown]
	v_mul_f32_e32 v71, 0x3eb8f4ab, v167
	v_fmamk_f32 v49, v88, 0x3ee437d1, v95
	v_mul_f32_e32 v98, 0xbf4c4adb, v58
	v_fma_f32 v50, 0x3ee437d1, v89, -v107
	v_mul_f32_e32 v108, 0xbf4c4adb, v57
	v_fmamk_f32 v51, v117, 0x3f6eb680, v71
	v_add_f32_e32 v49, v49, v4
	v_fmamk_f32 v52, v90, 0xbf1a4643, v98
	v_add_f32_e32 v50, v50, v5
	v_fma_f32 v53, 0xbf1a4643, v92, -v108
	v_mul_f32_e32 v99, 0x3e3c28d5, v60
	v_mul_f32_e32 v109, 0x3e3c28d5, v59
	v_add_f32_e32 v0, v51, v0
	v_add_f32_e32 v49, v52, v49
	;; [unrolled: 1-line block ×3, first 2 shown]
	v_fmamk_f32 v51, v103, 0xbf7ba420, v99
	v_fma_f32 v52, 0xbf7ba420, v104, -v109
	v_mul_f32_e32 v97, 0x3f763a35, v80
	v_mul_f32_e32 v111, 0x3f763a35, v136
	;; [unrolled: 1-line block ×3, first 2 shown]
	v_add_f32_e32 v49, v51, v49
	v_add_f32_e32 v50, v52, v50
	v_fmamk_f32 v51, v91, 0xbe8c1d8e, v97
	v_fma_f32 v52, 0xbe8c1d8e, v110, -v111
	v_mul_f32_e32 v115, 0x3f2c7751, v138
	v_mul_f32_e32 v83, 0x3eb8f4ab, v168
	v_mul_f32_e32 v94, 0xbeb8f4ab, v154
	v_add_f32_e32 v49, v51, v49
	v_add_f32_e32 v50, v52, v50
	v_fmamk_f32 v51, v100, 0x3f3d2fb0, v93
	v_fma_f32 v52, 0x3f3d2fb0, v101, -v115
	v_mul_f32_e32 v113, 0xbeb8f4ab, v155
	v_fma_f32 v53, 0x3f6eb680, v119, -v83
	v_mul_f32_e32 v96, 0xbf7ee86f, v156
	v_add_f32_e32 v49, v51, v49
	v_add_f32_e32 v50, v52, v50
	v_fmamk_f32 v51, v105, 0x3f6eb680, v94
	v_fma_f32 v52, 0x3f6eb680, v106, -v113
	v_mul_f32_e32 v116, 0xbf7ee86f, v158
	v_mul_f32_e32 v122, 0xbf7ee86f, v55
	v_add_f32_e32 v1, v53, v1
	v_add_f32_e32 v49, v51, v49
	;; [unrolled: 1-line block ×3, first 2 shown]
	v_fmamk_f32 v51, v112, 0x3dbcf732, v96
	v_fma_f32 v52, 0x3dbcf732, v114, -v116
	v_fmamk_f32 v53, v88, 0x3dbcf732, v122
	v_mul_f32_e32 v123, 0xbe3c28d5, v58
	v_mul_f32_e32 v132, 0xbf7ee86f, v56
	v_add_f32_e32 v49, v51, v49
	v_add_f32_e32 v50, v52, v50
	;; [unrolled: 1-line block ×3, first 2 shown]
	v_fmamk_f32 v52, v90, 0xbf7ba420, v123
	v_fma_f32 v53, 0x3dbcf732, v89, -v132
	v_mul_f32_e32 v133, 0xbe3c28d5, v57
	v_mul_f32_e32 v120, 0x3f763a35, v60
	v_mul_f32_e32 v134, 0x3f763a35, v59
	v_add_f32_e32 v51, v52, v51
	v_add_f32_e32 v52, v53, v5
	v_fma_f32 v53, 0xbf7ba420, v92, -v133
	v_fmamk_f32 v54, v103, 0xbe8c1d8e, v120
	v_mul_f32_e32 v121, 0x3eb8f4ab, v80
	v_mul_f32_e32 v131, 0x3eb8f4ab, v136
	v_mul_f32_e32 v124, 0xbf65296c, v137
	v_add_f32_e32 v52, v53, v52
	v_add_f32_e32 v51, v54, v51
	v_fma_f32 v53, 0xbe8c1d8e, v104, -v134
	v_fmamk_f32 v54, v91, 0x3f6eb680, v121
	v_mul_f32_e32 v102, 0xbf06c442, v167
	v_mul_f32_e32 v128, 0xbf65296c, v138
	v_mul_f32_e32 v126, 0xbf06c442, v154
	v_add_f32_e32 v52, v53, v52
	v_add_f32_e32 v51, v54, v51
	v_fma_f32 v53, 0x3f6eb680, v110, -v131
	v_fmamk_f32 v54, v100, 0x3ee437d1, v124
	v_fmamk_f32 v118, v117, 0xbf59a7d5, v102
	v_mul_f32_e32 v129, 0xbf06c442, v155
	v_mul_f32_e32 v125, 0x3f4c4adb, v156
	v_add_f32_e32 v52, v53, v52
	v_add_f32_e32 v51, v54, v51
	v_fma_f32 v53, 0x3ee437d1, v101, -v128
	v_fmamk_f32 v54, v105, 0xbf59a7d5, v126
	v_add_f32_e32 v49, v118, v49
	v_mul_f32_e32 v118, 0xbf06c442, v168
	v_mul_f32_e32 v130, 0x3f4c4adb, v158
	v_add_f32_e32 v52, v53, v52
	v_add_f32_e32 v51, v54, v51
	v_fma_f32 v53, 0xbf59a7d5, v106, -v129
	v_fmamk_f32 v54, v112, 0xbf1a4643, v125
	v_mul_f32_e32 v139, 0xbf763a35, v55
	v_fma_f32 v127, 0xbf59a7d5, v119, -v118
	v_mul_f32_e32 v140, 0x3f06c442, v58
	v_add_f32_e32 v52, v53, v52
	v_fma_f32 v53, 0xbf1a4643, v114, -v130
	v_add_f32_e32 v51, v54, v51
	v_fmamk_f32 v54, v88, 0xbe8c1d8e, v139
	v_mul_f32_e32 v148, 0xbf763a35, v56
	v_add_f32_e32 v50, v127, v50
	v_add_f32_e32 v52, v53, v52
	v_mul_f32_e32 v127, 0x3f2c7751, v167
	v_add_f32_e32 v53, v54, v4
	v_fmamk_f32 v54, v90, 0xbf59a7d5, v140
	v_fma_f32 v135, 0xbe8c1d8e, v89, -v148
	v_mul_f32_e32 v150, 0x3f06c442, v57
	v_mul_f32_e32 v141, 0x3f2c7751, v60
	v_fmamk_f32 v143, v117, 0x3f3d2fb0, v127
	v_add_f32_e32 v53, v54, v53
	v_add_f32_e32 v54, v135, v5
	v_fma_f32 v135, 0xbf59a7d5, v92, -v150
	v_fmamk_f32 v144, v103, 0x3f3d2fb0, v141
	v_mul_f32_e32 v146, 0x3f2c7751, v59
	v_mul_f32_e32 v142, 0xbf65296c, v80
	v_add_f32_e32 v51, v143, v51
	v_add_f32_e32 v54, v135, v54
	v_add_f32_e32 v53, v144, v53
	v_fma_f32 v143, 0x3f3d2fb0, v104, -v146
	v_fmamk_f32 v145, v91, 0x3ee437d1, v142
	v_mul_f32_e32 v147, 0xbf65296c, v136
	v_mul_f32_e32 v144, 0xbe3c28d5, v137
	;; [unrolled: 1-line block ×3, first 2 shown]
	v_add_f32_e32 v54, v143, v54
	v_add_f32_e32 v53, v145, v53
	v_fma_f32 v145, 0x3ee437d1, v110, -v147
	v_fmamk_f32 v151, v100, 0xbf7ba420, v144
	v_mul_f32_e32 v143, 0x3f7ee86f, v154
	v_mul_f32_e32 v149, 0xbe3c28d5, v138
	v_fma_f32 v153, 0x3f3d2fb0, v119, -v135
	v_add_f32_e32 v54, v145, v54
	v_add_f32_e32 v53, v151, v53
	v_fmamk_f32 v157, v105, 0x3dbcf732, v143
	v_mul_f32_e32 v145, 0xbeb8f4ab, v156
	v_fma_f32 v151, 0xbf7ba420, v101, -v149
	v_mul_f32_e32 v152, 0x3f7ee86f, v155
	v_mul_f32_e32 v164, 0xbf4c4adb, v55
	v_add_f32_e32 v53, v157, v53
	v_fmamk_f32 v157, v112, 0x3f6eb680, v145
	v_mul_f32_e32 v169, 0xbf4c4adb, v56
	v_add_f32_e32 v52, v153, v52
	v_add_f32_e32 v54, v151, v54
	v_fma_f32 v153, 0x3dbcf732, v106, -v152
	v_mul_f32_e32 v151, 0xbeb8f4ab, v158
	v_add_f32_e32 v53, v157, v53
	v_fmamk_f32 v157, v88, 0xbf1a4643, v164
	v_mul_f32_e32 v165, 0x3f763a35, v58
	v_fma_f32 v159, 0xbf1a4643, v89, -v169
	v_mul_f32_e32 v171, 0x3f763a35, v57
	v_add_f32_e32 v54, v153, v54
	v_fma_f32 v153, 0x3f6eb680, v114, -v151
	v_add_f32_e32 v157, v157, v4
	v_fmamk_f32 v160, v90, 0xbe8c1d8e, v165
	v_add_f32_e32 v159, v159, v5
	v_fma_f32 v161, 0xbe8c1d8e, v92, -v171
	v_mul_f32_e32 v162, 0xbeb8f4ab, v60
	v_mul_f32_e32 v170, 0xbeb8f4ab, v59
	v_add_f32_e32 v54, v153, v54
	v_mul_f32_e32 v153, 0xbf4c4adb, v167
	v_add_f32_e32 v157, v160, v157
	v_add_f32_e32 v160, v161, v159
	v_fmamk_f32 v161, v103, 0x3f6eb680, v162
	v_fma_f32 v163, 0x3f6eb680, v104, -v170
	v_mul_f32_e32 v159, 0xbf06c442, v80
	v_mul_f32_e32 v172, 0xbf06c442, v136
	v_fmamk_f32 v166, v117, 0xbf1a4643, v153
	v_add_f32_e32 v157, v161, v157
	v_add_f32_e32 v161, v163, v160
	v_fmamk_f32 v163, v91, 0xbf59a7d5, v159
	v_fma_f32 v173, 0xbf59a7d5, v110, -v172
	v_mul_f32_e32 v160, 0x3f7ee86f, v137
	v_mul_f32_e32 v174, 0x3f7ee86f, v138
	v_add_f32_e32 v53, v166, v53
	v_add_f32_e32 v163, v163, v157
	;; [unrolled: 1-line block ×3, first 2 shown]
	v_fmamk_f32 v173, v100, 0x3dbcf732, v160
	v_fma_f32 v176, 0x3dbcf732, v101, -v174
	v_mul_f32_e32 v161, 0xbf2c7751, v154
	v_mul_f32_e32 v180, 0xbf06c442, v55
	;; [unrolled: 1-line block ×3, first 2 shown]
	v_add_f32_e32 v177, v173, v163
	v_add_f32_e32 v166, v176, v166
	v_fmamk_f32 v176, v105, 0x3f3d2fb0, v161
	v_mul_f32_e32 v157, 0xbf4c4adb, v168
	v_mul_f32_e32 v182, 0x3f65296c, v58
	;; [unrolled: 1-line block ×3, first 2 shown]
	v_fma_f32 v178, 0x3f3d2fb0, v106, -v175
	v_add_f32_e32 v181, v176, v177
	v_fmamk_f32 v177, v88, 0xbf59a7d5, v180
	v_mul_f32_e32 v163, 0xbe3c28d5, v156
	v_fma_f32 v179, 0xbf1a4643, v119, -v157
	v_fmamk_f32 v188, v90, 0x3ee437d1, v182
	v_fma_f32 v189, 0xbf59a7d5, v89, -v186
	v_add_f32_e32 v177, v177, v4
	v_mul_f32_e32 v187, 0x3f65296c, v57
	v_mul_f32_e32 v183, 0xbf7ee86f, v60
	;; [unrolled: 1-line block ×3, first 2 shown]
	v_add_f32_e32 v184, v178, v166
	v_fmamk_f32 v178, v112, 0xbf7ba420, v163
	v_add_f32_e32 v54, v179, v54
	v_add_f32_e32 v179, v188, v177
	;; [unrolled: 1-line block ×3, first 2 shown]
	v_fma_f32 v190, 0x3ee437d1, v92, -v187
	v_fmamk_f32 v191, v103, 0x3dbcf732, v183
	v_mul_f32_e32 v188, 0xbf7ee86f, v59
	v_mul_f32_e32 v177, 0x3f4c4adb, v80
	v_fma_f32 v185, 0xbf7ba420, v114, -v173
	v_add_f32_e32 v192, v178, v181
	v_add_f32_e32 v181, v190, v189
	;; [unrolled: 1-line block ×3, first 2 shown]
	v_fma_f32 v190, 0x3dbcf732, v104, -v188
	v_fmamk_f32 v191, v91, 0xbf1a4643, v177
	v_mul_f32_e32 v189, 0x3f4c4adb, v136
	v_mul_f32_e32 v178, 0xbeb8f4ab, v137
	v_add_f32_e32 v204, v185, v184
	v_add_f32_e32 v184, v190, v181
	;; [unrolled: 1-line block ×3, first 2 shown]
	v_fma_f32 v185, 0xbf1a4643, v110, -v189
	v_fmamk_f32 v191, v100, 0x3f6eb680, v178
	v_mul_f32_e32 v190, 0xbeb8f4ab, v138
	v_mul_f32_e32 v181, 0xbe3c28d5, v154
	;; [unrolled: 1-line block ×3, first 2 shown]
	v_add_f32_e32 v184, v185, v184
	v_add_f32_e32 v191, v191, v179
	v_fma_f32 v194, 0x3f6eb680, v101, -v190
	v_fmamk_f32 v195, v105, 0xbf7ba420, v181
	v_mul_f32_e32 v185, 0xbe3c28d5, v155
	v_mul_f32_e32 v179, 0x3f2c7751, v156
	;; [unrolled: 1-line block ×3, first 2 shown]
	v_add_f32_e32 v184, v194, v184
	v_add_f32_e32 v191, v195, v191
	v_fma_f32 v194, 0xbf7ba420, v106, -v185
	v_fmamk_f32 v196, v112, 0x3f3d2fb0, v179
	v_mul_f32_e32 v195, 0xbe3c28d5, v55
	v_fmamk_f32 v193, v117, 0x3ee437d1, v166
	v_mul_f32_e32 v199, 0x3eb8f4ab, v57
	v_add_f32_e32 v56, v194, v184
	v_add_f32_e32 v206, v196, v191
	v_fmamk_f32 v184, v88, 0xbf7ba420, v195
	v_mul_f32_e32 v196, 0x3eb8f4ab, v58
	v_fma_f32 v58, 0xbf7ba420, v89, -v198
	v_add_f32_e32 v55, v193, v192
	v_mul_f32_e32 v191, 0x3f2c7751, v158
	v_add_f32_e32 v57, v184, v4
	v_fmamk_f32 v184, v90, 0x3f6eb680, v196
	v_add_f32_e32 v58, v58, v5
	v_fma_f32 v192, 0x3f6eb680, v92, -v199
	v_mul_f32_e32 v197, 0xbf06c442, v60
	v_mul_f32_e32 v200, 0xbf06c442, v59
	v_fma_f32 v59, 0x3f3d2fb0, v114, -v191
	v_add_f32_e32 v57, v184, v57
	v_add_f32_e32 v58, v192, v58
	v_fmamk_f32 v60, v103, 0xbf59a7d5, v197
	v_fma_f32 v184, 0xbf59a7d5, v104, -v200
	v_mul_f32_e32 v192, 0x3f2c7751, v80
	v_mul_f32_e32 v202, 0x3f2c7751, v136
	v_add_f32_e32 v59, v59, v56
	v_add_f32_e32 v56, v60, v57
	;; [unrolled: 1-line block ×3, first 2 shown]
	v_fmamk_f32 v58, v91, 0x3f3d2fb0, v192
	v_fma_f32 v60, 0x3f3d2fb0, v110, -v202
	v_mul_f32_e32 v193, 0xbf4c4adb, v137
	v_mul_f32_e32 v203, 0xbf4c4adb, v138
	v_mul_f32_e32 v194, 0x3f65296c, v154
	v_add_f32_e32 v56, v58, v56
	v_add_f32_e32 v57, v60, v57
	v_fmamk_f32 v58, v100, 0xbf1a4643, v193
	v_fma_f32 v60, 0xbf1a4643, v101, -v203
	v_mul_f32_e32 v201, 0x3f65296c, v155
	v_mul_f32_e32 v155, 0xbf763a35, v156
	v_mul_f32_e32 v158, 0xbf763a35, v158
	v_add_f32_e32 v56, v58, v56
	v_add_f32_e32 v57, v60, v57
	;; [unrolled: 7-line block ×3, first 2 shown]
	v_fmamk_f32 v58, v112, 0xbe8c1d8e, v155
	v_fma_f32 v60, 0xbe8c1d8e, v114, -v158
	v_mul_f32_e32 v156, 0x3f7ee86f, v167
	v_mul_f32_e32 v167, 0x3f7ee86f, v168
	v_fma_f32 v205, 0x3ee437d1, v119, -v176
	v_fmamk_f32 v80, v117, 0xbe8c1d8e, v184
	v_fma_f32 v136, 0xbe8c1d8e, v119, -v154
	v_add_f32_e32 v137, v58, v56
	v_add_f32_e32 v60, v60, v57
	v_fmamk_f32 v138, v117, 0x3dbcf732, v156
	v_fma_f32 v168, 0x3dbcf732, v119, -v167
	v_add_f32_e32 v56, v205, v204
	v_add_f32_e32 v57, v80, v206
	;; [unrolled: 1-line block ×5, first 2 shown]
	v_mul_lo_u16 v233, v78, 17
	s_barrier
	buffer_gl0_inv
	s_and_saveexec_b32 s4, vcc_lo
	s_cbranch_execz .LBB0_7
; %bb.6:
	v_add_f32_e32 v7, v7, v5
	v_mul_f32_e32 v80, 0x3f6eb680, v88
	v_mul_f32_e32 v215, 0xbf7ba420, v89
	;; [unrolled: 1-line block ×4, first 2 shown]
	v_add_f32_e32 v7, v33, v7
	buffer_store_dword v80, off, s[16:19], 0 ; 4-byte Folded Spill
	v_add_f32_e32 v198, v198, v215
	v_add_f32_e32 v199, v199, v229
	v_mul_f32_e32 v214, 0xbf7ba420, v88
	v_add_f32_e32 v7, v35, v7
	v_mul_f32_e32 v228, 0x3f6eb680, v90
	;; [unrolled: 2-line block ×3, first 2 shown]
	v_sub_f32_e32 v195, v214, v195
	v_add_f32_e32 v7, v29, v7
	v_mul_f32_e32 v213, 0xbf59a7d5, v89
	v_add_f32_e32 v198, v199, v198
	v_add_f32_e32 v199, v200, v243
	v_mul_f32_e32 v200, 0x3f3d2fb0, v110
	v_add_f32_e32 v7, v31, v7
	buffer_load_dword v31, off, s[16:19], 0 ; 4-byte Folded Reload
	v_mul_f32_e32 v242, 0xbf59a7d5, v103
	v_add_f32_e32 v198, v199, v198
	v_add_f32_e32 v199, v202, v200
	v_mul_f32_e32 v200, 0xbf1a4643, v101
	v_add_f32_e32 v201, v201, v253
	v_mul_f32_e32 v253, 0xbe8c1d8e, v114
	v_sub_f32_e32 v196, v228, v196
	v_add_f32_e32 v198, v199, v198
	v_add_f32_e32 v199, v203, v200
	;; [unrolled: 1-line block ×3, first 2 shown]
	v_mul_f32_e32 v136, 0x3f3d2fb0, v90
	v_mul_f32_e32 v216, 0x3dbcf732, v90
	;; [unrolled: 1-line block ×3, first 2 shown]
	v_add_f32_e32 v198, v199, v198
	v_mul_f32_e32 v220, 0xbf7ba420, v90
	v_mul_f32_e32 v222, 0xbf59a7d5, v90
	v_mul_f32_e32 v224, 0xbe8c1d8e, v90
	v_mul_f32_e32 v226, 0x3ee437d1, v90
	v_mul_f32_e32 v227, 0x3ee437d1, v92
	v_mul_f32_e32 v90, 0x3ee437d1, v103
	v_mul_f32_e32 v230, 0xbf1a4643, v103
	v_mul_f32_e32 v232, 0xbf7ba420, v103
	v_mul_f32_e32 v234, 0xbe8c1d8e, v103
	v_mul_f32_e32 v236, 0x3f3d2fb0, v103
	v_mul_f32_e32 v238, 0x3f6eb680, v103
	v_mul_f32_e32 v240, 0x3dbcf732, v103
	v_mul_f32_e32 v103, 0x3dbcf732, v91
	v_mul_f32_e32 v215, 0xbf7ba420, v91
	v_mul_f32_e32 v245, 0xbe8c1d8e, v91
	v_mul_f32_e32 v229, 0x3f6eb680, v91
	v_mul_f32_e32 v248, 0x3ee437d1, v91
	v_mul_f32_e32 v243, 0xbf59a7d5, v91
	v_mul_f32_e32 v251, 0xbf1a4643, v91
	v_mul_f32_e32 v91, 0x3f3d2fb0, v91
	v_add_f32_e32 v198, v201, v198
	v_add_f32_e32 v158, v158, v253
	;; [unrolled: 1-line block ×3, first 2 shown]
	v_sub_f32_e32 v197, v242, v197
	v_add_f32_e32 v186, v186, v213
	v_mul_f32_e32 v241, 0x3dbcf732, v104
	v_mul_f32_e32 v202, 0xbe8c1d8e, v100
	;; [unrolled: 1-line block ×6, first 2 shown]
	v_add_f32_e32 v158, v158, v198
	v_mul_f32_e32 v198, 0x3dbcf732, v100
	v_add_f32_e32 v195, v197, v195
	v_mul_f32_e32 v197, 0x3f6eb680, v100
	v_mul_f32_e32 v100, 0xbf1a4643, v100
	v_sub_f32_e32 v91, v91, v192
	v_add_f32_e32 v187, v187, v227
	v_add_f32_e32 v186, v186, v5
	;; [unrolled: 1-line block ×3, first 2 shown]
	v_sub_f32_e32 v100, v100, v193
	v_add_f32_e32 v91, v91, v195
	v_mul_f32_e32 v137, 0x3f6eb680, v89
	v_add_f32_e32 v186, v187, v186
	v_mul_f32_e32 v187, 0x3ee437d1, v105
	v_mul_f32_e32 v138, 0x3f3d2fb0, v88
	;; [unrolled: 1-line block ×20, first 2 shown]
	v_mov_b32_e32 v88, v43
	v_mov_b32_e32 v43, v39
	v_mul_f32_e32 v39, 0xbf7ba420, v104
	v_mul_f32_e32 v235, 0xbe8c1d8e, v104
	;; [unrolled: 1-line block ×12, first 2 shown]
	v_add_f32_e32 v91, v100, v91
	v_sub_f32_e32 v100, v187, v194
	v_add_f32_e32 v186, v188, v186
	v_mul_f32_e32 v188, 0xbe8c1d8e, v112
	v_mul_f32_e32 v200, 0xbe8c1d8e, v101
	;; [unrolled: 1-line block ×6, first 2 shown]
	v_add_f32_e32 v167, v167, v196
	v_mul_f32_e32 v196, 0x3dbcf732, v101
	v_mul_f32_e32 v101, 0x3f6eb680, v101
	v_add_f32_e32 v110, v189, v110
	v_add_f32_e32 v91, v100, v91
	v_sub_f32_e32 v100, v188, v155
	v_mul_f32_e32 v192, 0xbf1a4643, v106
	v_mul_f32_e32 v195, 0xbe8c1d8e, v106
	;; [unrolled: 1-line block ×5, first 2 shown]
	v_add_f32_e32 v110, v110, v186
	v_mul_f32_e32 v186, 0x3f3d2fb0, v106
	v_add_f32_e32 v101, v190, v101
	v_mul_f32_e32 v106, 0xbf7ba420, v106
	v_add_f32_e32 v190, v100, v91
	v_sub_f32_e32 v100, v212, v180
	v_add_f32_e32 v169, v169, v211
	v_add_f32_e32 v91, v101, v110
	;; [unrolled: 1-line block ×3, first 2 shown]
	v_sub_f32_e32 v110, v226, v182
	v_add_f32_e32 v100, v100, v4
	v_add_f32_e32 v171, v171, v225
	;; [unrolled: 1-line block ×4, first 2 shown]
	v_mul_f32_e32 v106, 0x3f3d2fb0, v114
	v_add_f32_e32 v91, v110, v100
	v_sub_f32_e32 v100, v240, v183
	v_add_f32_e32 v169, v171, v169
	v_add_f32_e32 v170, v170, v239
	v_mul_f32_e32 v213, 0xbf1a4643, v105
	v_mul_f32_e32 v227, 0xbe8c1d8e, v105
	v_add_f32_e32 v91, v100, v91
	v_sub_f32_e32 v100, v251, v177
	v_mul_f32_e32 v193, 0x3f6eb680, v105
	v_mul_f32_e32 v254, 0xbf59a7d5, v105
	;; [unrolled: 1-line block ×5, first 2 shown]
	v_add_f32_e32 v91, v100, v91
	v_sub_f32_e32 v100, v197, v178
	v_add_f32_e32 v106, v191, v106
	v_add_f32_e32 v169, v170, v169
	;; [unrolled: 1-line block ×4, first 2 shown]
	v_mul_f32_e32 v196, 0xbe8c1d8e, v119
	v_mul_f32_e32 v255, 0xbf59a7d5, v112
	;; [unrolled: 1-line block ×8, first 2 shown]
	v_add_f32_e32 v100, v100, v91
	v_sub_f32_e32 v105, v105, v181
	v_mul_f32_e32 v188, 0x3dbcf732, v117
	v_add_f32_e32 v169, v172, v169
	v_add_f32_e32 v101, v106, v101
	;; [unrolled: 1-line block ×3, first 2 shown]
	v_mul_f32_e32 v225, 0xbf7ba420, v117
	v_mul_f32_e32 v171, 0x3f6eb680, v117
	;; [unrolled: 1-line block ×7, first 2 shown]
	v_add_f32_e32 v100, v105, v100
	v_sub_f32_e32 v105, v112, v179
	v_sub_f32_e32 v156, v188, v156
	v_mul_f32_e32 v188, 0xbf59a7d5, v114
	v_mul_f32_e32 v180, 0x3ee437d1, v114
	;; [unrolled: 1-line block ×6, first 2 shown]
	v_add_f32_e32 v112, v174, v169
	v_add_f32_e32 v154, v175, v186
	;; [unrolled: 1-line block ×3, first 2 shown]
	v_sub_f32_e32 v106, v210, v164
	v_add_f32_e32 v100, v105, v100
	v_sub_f32_e32 v105, v117, v184
	v_mul_f32_e32 v177, 0xbf7ba420, v119
	v_mul_f32_e32 v226, 0x3f6eb680, v119
	;; [unrolled: 1-line block ×6, first 2 shown]
	v_add_f32_e32 v112, v154, v112
	v_add_f32_e32 v114, v173, v114
	;; [unrolled: 1-line block ×3, first 2 shown]
	v_sub_f32_e32 v117, v224, v165
	v_add_f32_e32 v100, v105, v100
	v_add_f32_e32 v105, v148, v209
	v_sub_f32_e32 v72, v138, v72
	v_add_f32_e32 v6, v6, v4
	v_add_f32_e32 v112, v114, v112
	v_add_f32_e32 v114, v176, v119
	v_add_f32_e32 v106, v117, v106
	v_sub_f32_e32 v117, v238, v162
	v_add_f32_e32 v119, v105, v5
	v_add_f32_e32 v148, v150, v223
	v_add_f32_e32 v107, v107, v205
	v_add_f32_e32 v72, v72, v4
	v_sub_f32_e32 v73, v216, v73
	v_add_f32_e32 v6, v32, v6
	v_add_f32_e32 v105, v114, v112
	v_add_f32_e32 v106, v117, v106
	v_sub_f32_e32 v114, v243, v159
	v_sub_f32_e32 v112, v208, v139
	v_add_f32_e32 v117, v148, v119
	v_add_f32_e32 v119, v146, v237
	v_add_f32_e32 v107, v107, v5
	v_add_f32_e32 v108, v108, v219
	v_add_f32_e32 v72, v73, v72
	v_sub_f32_e32 v73, v230, v74
	v_add_f32_e32 v6, v34, v6
	v_add_f32_e32 v106, v114, v106
	v_sub_f32_e32 v114, v198, v160
	v_add_f32_e32 v112, v112, v4
	v_sub_f32_e32 v139, v222, v140
	v_add_f32_e32 v117, v119, v117
	v_add_f32_e32 v119, v147, v249
	v_add_f32_e32 v107, v108, v107
	v_add_f32_e32 v108, v109, v39
	v_add_f32_e32 v72, v73, v72
	v_sub_f32_e32 v73, v215, v75
	v_add_f32_e32 v28, v28, v6
	v_add_f32_e32 v106, v114, v106
	v_sub_f32_e32 v114, v155, v161
	v_add_f32_e32 v112, v139, v112
	;; [unrolled: 11-line block ×3, first 2 shown]
	v_sub_f32_e32 v139, v248, v142
	v_add_f32_e32 v117, v119, v117
	v_add_f32_e32 v119, v152, v194
	;; [unrolled: 1-line block ×4, first 2 shown]
	v_sub_f32_e32 v95, v204, v95
	v_add_f32_e32 v72, v73, v72
	v_sub_f32_e32 v32, v227, v68
	v_add_f32_e32 v7, v25, v7
	v_add_f32_e32 v24, v24, v28
	;; [unrolled: 1-line block ×5, first 2 shown]
	v_sub_f32_e32 v139, v253, v144
	v_add_f32_e32 v117, v119, v117
	v_add_f32_e32 v119, v151, v183
	;; [unrolled: 1-line block ×5, first 2 shown]
	v_sub_f32_e32 v98, v218, v98
	v_add_f32_e32 v32, v32, v72
	v_sub_f32_e32 v34, v80, v69
	v_add_f32_e32 v7, v27, v7
	v_add_f32_e32 v24, v26, v24
	v_add_f32_e32 v114, v114, v5
	v_add_f32_e32 v133, v133, v221
	v_add_f32_e32 v112, v139, v112
	v_sub_f32_e32 v132, v189, v143
	v_add_f32_e32 v117, v119, v117
	v_add_f32_e32 v119, v157, v181
	v_sub_f32_e32 v122, v206, v122
	v_add_f32_e32 v98, v98, v113
	v_sub_f32_e32 v99, v232, v99
	v_add_f32_e32 v84, v84, v168
	v_add_f32_e32 v29, v34, v32
	;; [unrolled: 1-line block ×8, first 2 shown]
	v_sub_f32_e32 v132, v110, v145
	v_add_f32_e32 v110, v119, v117
	v_add_f32_e32 v119, v122, v4
	;; [unrolled: 1-line block ×6, first 2 shown]
	v_sub_f32_e32 v28, v136, v43
	v_add_f32_e32 v7, v23, v7
	v_add_f32_e32 v20, v22, v20
	;; [unrolled: 1-line block ×5, first 2 shown]
	v_sub_f32_e32 v122, v220, v123
	v_add_f32_e32 v5, v25, v5
	v_add_f32_e32 v25, v45, v92
	v_sub_f32_e32 v21, v90, v88
	v_add_f32_e32 v7, v9, v7
	v_add_f32_e32 v8, v8, v20
	;; [unrolled: 1-line block ×7, first 2 shown]
	v_sub_f32_e32 v120, v234, v120
	v_add_f32_e32 v5, v25, v5
	v_add_f32_e32 v24, v47, v104
	;; [unrolled: 1-line block ×4, first 2 shown]
	v_sub_f32_e32 v97, v245, v97
	v_add_f32_e32 v81, v81, v86
	v_add_f32_e32 v82, v82, v244
	;; [unrolled: 1-line block ×5, first 2 shown]
	v_sub_f32_e32 v120, v229, v121
	s_waitcnt vmcnt(0)
	v_sub_f32_e32 v31, v31, v40
	v_add_f32_e32 v5, v24, v5
	v_add_f32_e32 v9, v61, v200
	v_sub_f32_e32 v20, v202, v46
	v_add_f32_e32 v7, v13, v7
	v_add_f32_e32 v4, v31, v4
	v_add_f32_e32 v8, v12, v8
	v_add_f32_e32 v97, v97, v98
	v_sub_f32_e32 v93, v199, v93
	v_add_f32_e32 v81, v82, v81
	v_add_f32_e32 v4, v28, v4
	v_add_f32_e32 v82, v85, v252
	v_add_f32_e32 v112, v132, v112
	v_sub_f32_e32 v123, v240, v153
	v_add_f32_e32 v114, v117, v114
	v_add_f32_e32 v4, v21, v4
	v_sub_f32_e32 v21, v103, v44
	v_add_f32_e32 v117, v130, v212
	v_add_f32_e32 v119, v120, v119
	v_sub_f32_e32 v120, v228, v124
	v_add_f32_e32 v5, v9, v5
	v_add_f32_e32 v4, v21, v4
	;; [unrolled: 1-line block ×3, first 2 shown]
	v_sub_f32_e32 v10, v213, v62
	v_add_f32_e32 v7, v15, v7
	v_add_f32_e32 v8, v14, v8
	;; [unrolled: 1-line block ×4, first 2 shown]
	v_sub_f32_e32 v94, v193, v94
	v_add_f32_e32 v81, v82, v81
	v_add_f32_e32 v82, v87, v195
	;; [unrolled: 1-line block ×5, first 2 shown]
	v_sub_f32_e32 v114, v254, v126
	v_add_f32_e32 v5, v9, v5
	v_add_f32_e32 v9, v65, v188
	;; [unrolled: 1-line block ×3, first 2 shown]
	v_sub_f32_e32 v10, v255, v64
	v_add_f32_e32 v7, v17, v7
	v_add_f32_e32 v8, v16, v8
	;; [unrolled: 1-line block ×5, first 2 shown]
	v_sub_f32_e32 v86, v182, v96
	v_add_f32_e32 v76, v82, v81
	v_add_f32_e32 v70, v70, v180
	;; [unrolled: 1-line block ×4, first 2 shown]
	v_sub_f32_e32 v114, v191, v125
	v_add_f32_e32 v5, v9, v5
	v_add_f32_e32 v9, v67, v177
	;; [unrolled: 1-line block ×3, first 2 shown]
	v_sub_f32_e32 v10, v225, v66
	v_add_f32_e32 v11, v19, v7
	v_add_f32_e32 v12, v18, v8
	v_and_b32_e32 v13, 0xffff, v233
	v_add_f32_e32 v107, v108, v107
	v_add_f32_e32 v108, v118, v178
	v_add_f32_e32 v74, v86, v74
	v_sub_f32_e32 v75, v239, v102
	v_add_f32_e32 v33, v70, v76
	v_add_f32_e32 v68, v83, v226
	v_sub_f32_e32 v30, v171, v71
	v_add_f32_e32 v95, v115, v111
	v_add_f32_e32 v111, v114, v112
	v_sub_f32_e32 v112, v170, v127
	v_sub_f32_e32 v134, v172, v166
	v_add_f32_e32 v8, v9, v5
	v_add_f32_e32 v7, v10, v4
	;; [unrolled: 1-line block ×4, first 2 shown]
	v_add_lshl_u32 v4, v38, v13, 3
	v_add_f32_e32 v84, v108, v107
	v_add_f32_e32 v83, v75, v74
	;; [unrolled: 1-line block ×8, first 2 shown]
	ds_write2_b64 v4, v[9:10], v[7:8] offset1:1
	ds_write2_b64 v4, v[5:6], v[83:84] offset0:2 offset1:3
	ds_write2_b64 v4, v[94:95], v[109:110] offset0:4 offset1:5
	;; [unrolled: 1-line block ×7, first 2 shown]
	ds_write_b64 v4, v[2:3] offset:128
.LBB0_7:
	s_or_b32 exec_lo, exec_lo, s4
	v_and_b32_e32 v4, 0xff, v78
	v_add_nc_u16 v5, v78, 0x66
	v_add_nc_u16 v7, v78, 51
	s_load_dwordx4 s[4:7], s[2:3], 0x0
	s_waitcnt lgkmcnt(0)
	s_waitcnt_vscnt null, 0x0
	v_mul_lo_u16 v4, 0xf1, v4
	v_and_b32_e32 v6, 0xff, v5
	s_barrier
	buffer_gl0_inv
	v_add_lshl_u32 v82, v38, v78, 3
	v_lshrrev_b16 v28, 12, v4
	v_mul_lo_u16 v4, 0xf1, v6
	v_and_b32_e32 v6, 0xff, v7
	v_mov_b32_e32 v36, 51
	v_add_nc_u32_e32 v46, 0x800, v82
	v_mul_lo_u16 v8, v28, 17
	v_lshrrev_b16 v29, 12, v4
	v_mul_lo_u16 v4, 0xf1, v6
	v_lshlrev_b32_e32 v37, 6, v78
	v_lshl_add_u32 v81, v78, 3, v79
	v_sub_nc_u16 v30, v78, v8
	v_mul_lo_u16 v6, v29, 17
	v_lshrrev_b16 v31, 12, v4
	v_mov_b32_e32 v8, 4
	v_mul_u32_u24_sdwa v29, v29, v36 dst_sel:DWORD dst_unused:UNUSED_PAD src0_sel:WORD_0 src1_sel:DWORD
	v_lshlrev_b16 v4, 1, v30
	v_sub_nc_u16 v34, v5, v6
	v_mul_lo_u16 v5, v31, 17
	v_mad_u16 v28, v28, 51, v30
	v_mul_u32_u24_sdwa v30, v31, v36 dst_sel:DWORD dst_unused:UNUSED_PAD src0_sel:WORD_0 src1_sel:DWORD
	v_and_b32_e32 v4, 0xfe, v4
	v_lshlrev_b32_sdwa v6, v8, v34 dst_sel:DWORD dst_unused:UNUSED_PAD src0_sel:DWORD src1_sel:BYTE_0
	v_sub_nc_u16 v35, v7, v5
	v_and_b32_e32 v36, 0xff, v28
	v_add_nc_u32_sdwa v34, v29, v34 dst_sel:DWORD dst_unused:UNUSED_PAD src0_sel:DWORD src1_sel:BYTE_0
	v_lshlrev_b32_e32 v4, 3, v4
	global_load_dwordx4 v[12:15], v6, s[0:1]
	v_lshlrev_b32_sdwa v5, v8, v35 dst_sel:DWORD dst_unused:UNUSED_PAD src0_sel:DWORD src1_sel:BYTE_0
	v_add_nc_u32_sdwa v35, v30, v35 dst_sel:DWORD dst_unused:UNUSED_PAD src0_sel:DWORD src1_sel:BYTE_0
	v_add_lshl_u32 v86, v38, v36, 3
	s_clause 0x1
	global_load_dwordx4 v[8:11], v4, s[0:1]
	global_load_dwordx4 v[4:7], v5, s[0:1]
	ds_read2_b64 v[16:19], v82 offset0:204 offset1:255
	ds_read2_b64 v[20:23], v82 offset0:102 offset1:153
	ds_read_b64 v[32:33], v82 offset:3264
	ds_read2_b64 v[24:27], v46 offset0:50 offset1:101
	ds_read2_b64 v[28:31], v82 offset1:51
	v_add_lshl_u32 v85, v38, v35, 3
	v_add_lshl_u32 v84, v38, v34, 3
	s_waitcnt vmcnt(0) lgkmcnt(0)
	s_barrier
	buffer_gl0_inv
	v_lshl_add_u32 v83, v78, 3, v79
	v_add_nc_u32_e32 v63, 0x400, v81
	v_add_nc_u32_e32 v64, 0x800, v81
	v_mul_f32_e32 v34, v19, v13
	v_mul_f32_e32 v35, v18, v13
	;; [unrolled: 1-line block ×12, first 2 shown]
	v_fma_f32 v18, v18, v12, -v34
	v_fmac_f32_e32 v35, v19, v12
	v_fma_f32 v19, v32, v14, -v36
	v_fma_f32 v22, v22, v8, -v39
	v_fmac_f32_e32 v40, v23, v8
	v_fma_f32 v23, v24, v10, -v41
	v_fmac_f32_e32 v42, v25, v10
	;; [unrolled: 2-line block ×4, first 2 shown]
	v_fmac_f32_e32 v38, v33, v14
	v_add_f32_e32 v17, v20, v18
	v_add_f32_e32 v25, v18, v19
	v_sub_f32_e32 v34, v18, v19
	v_add_f32_e32 v18, v28, v22
	v_add_f32_e32 v33, v22, v23
	;; [unrolled: 1-line block ×4, first 2 shown]
	v_sub_f32_e32 v45, v44, v47
	v_add_f32_e32 v61, v31, v44
	v_add_f32_e32 v44, v44, v47
	;; [unrolled: 1-line block ×3, first 2 shown]
	v_sub_f32_e32 v27, v35, v38
	v_add_f32_e32 v26, v21, v35
	v_sub_f32_e32 v35, v40, v42
	v_add_f32_e32 v36, v29, v40
	;; [unrolled: 2-line block ×3, first 2 shown]
	v_fma_f32 v22, -0.5, v33, v28
	v_fma_f32 v23, -0.5, v39, v29
	v_add_f32_e32 v41, v30, v16
	v_sub_f32_e32 v62, v16, v24
	v_fma_f32 v30, -0.5, v43, v30
	v_fmac_f32_e32 v31, -0.5, v44
	v_fma_f32 v20, -0.5, v25, v20
	v_fmac_f32_e32 v21, -0.5, v32
	v_add_f32_e32 v16, v17, v19
	v_add_f32_e32 v19, v36, v42
	v_fmamk_f32 v28, v35, 0x3f5db3d7, v22
	v_fmamk_f32 v29, v40, 0xbf5db3d7, v23
	v_fmac_f32_e32 v22, 0xbf5db3d7, v35
	v_fmac_f32_e32 v23, 0x3f5db3d7, v40
	v_add_f32_e32 v24, v41, v24
	v_add_f32_e32 v25, v61, v47
	v_fmamk_f32 v32, v45, 0x3f5db3d7, v30
	v_fmamk_f32 v33, v62, 0xbf5db3d7, v31
	v_fmac_f32_e32 v30, 0xbf5db3d7, v45
	v_fmac_f32_e32 v31, 0x3f5db3d7, v62
	v_add_f32_e32 v17, v26, v38
	v_fmamk_f32 v26, v27, 0x3f5db3d7, v20
	v_fmac_f32_e32 v20, 0xbf5db3d7, v27
	v_fmamk_f32 v27, v34, 0xbf5db3d7, v21
	v_fmac_f32_e32 v21, 0x3f5db3d7, v34
	ds_write2_b64 v86, v[18:19], v[28:29] offset1:17
	ds_write_b64 v86, v[22:23] offset:272
	ds_write2_b64 v85, v[24:25], v[32:33] offset1:17
	ds_write_b64 v85, v[30:31] offset:272
	;; [unrolled: 2-line block ×3, first 2 shown]
	s_waitcnt lgkmcnt(0)
	s_barrier
	buffer_gl0_inv
	s_clause 0x3
	global_load_dwordx4 v[28:31], v37, s[0:1] offset:272
	global_load_dwordx4 v[24:27], v37, s[0:1] offset:288
	;; [unrolled: 1-line block ×4, first 2 shown]
	ds_read2_b64 v[34:37], v82 offset1:51
	ds_read2_b64 v[38:41], v82 offset0:102 offset1:153
	ds_read2_b64 v[42:45], v82 offset0:204 offset1:255
	;; [unrolled: 1-line block ×3, first 2 shown]
	ds_read_b64 v[32:33], v82 offset:3264
	s_waitcnt vmcnt(3) lgkmcnt(4)
	v_mul_f32_e32 v46, v37, v29
	v_mul_f32_e32 v47, v36, v29
	s_waitcnt lgkmcnt(3)
	v_mul_f32_e32 v61, v39, v31
	v_mul_f32_e32 v62, v38, v31
	s_waitcnt vmcnt(2)
	v_mul_f32_e32 v69, v41, v25
	s_waitcnt lgkmcnt(2)
	v_mul_f32_e32 v71, v43, v27
	v_mul_f32_e32 v72, v42, v27
	s_waitcnt vmcnt(1)
	v_mul_f32_e32 v73, v45, v21
	v_mul_f32_e32 v74, v44, v21
	s_waitcnt vmcnt(0) lgkmcnt(1)
	v_mul_f32_e32 v80, v68, v17
	v_mul_f32_e32 v87, v67, v17
	s_waitcnt lgkmcnt(0)
	v_mul_f32_e32 v88, v33, v19
	v_mul_f32_e32 v89, v32, v19
	;; [unrolled: 1-line block ×5, first 2 shown]
	v_fma_f32 v36, v36, v28, -v46
	v_fmac_f32_e32 v47, v37, v28
	v_fma_f32 v37, v38, v30, -v61
	v_fmac_f32_e32 v62, v39, v30
	v_fma_f32 v38, v40, v24, -v69
	v_fma_f32 v39, v42, v26, -v71
	v_fmac_f32_e32 v72, v43, v26
	v_fma_f32 v40, v44, v20, -v73
	v_fmac_f32_e32 v74, v45, v20
	;; [unrolled: 2-line block ×4, first 2 shown]
	v_fmac_f32_e32 v70, v41, v24
	v_fma_f32 v41, v65, v22, -v75
	v_fmac_f32_e32 v76, v66, v22
	v_add_f32_e32 v42, v36, v32
	v_add_f32_e32 v43, v47, v89
	;; [unrolled: 1-line block ×4, first 2 shown]
	v_sub_f32_e32 v36, v36, v32
	v_sub_f32_e32 v47, v47, v89
	;; [unrolled: 1-line block ×4, first 2 shown]
	v_add_f32_e32 v67, v39, v40
	v_add_f32_e32 v68, v72, v74
	;; [unrolled: 1-line block ×4, first 2 shown]
	v_sub_f32_e32 v37, v37, v33
	v_sub_f32_e32 v62, v62, v87
	;; [unrolled: 1-line block ×4, first 2 shown]
	v_mul_f32_e32 v69, 0x3f248dbb, v36
	v_mul_f32_e32 v70, 0x3f248dbb, v47
	v_fmamk_f32 v71, v42, 0x3f441b7d, v34
	v_fmamk_f32 v73, v43, 0x3f441b7d, v35
	v_mul_f32_e32 v75, 0xbf248dbb, v65
	v_mul_f32_e32 v76, 0xbf248dbb, v66
	v_fmamk_f32 v80, v67, 0x3f441b7d, v34
	v_fmamk_f32 v87, v68, 0x3f441b7d, v35
	v_add_f32_e32 v90, v44, v42
	v_add_f32_e32 v91, v45, v43
	v_mul_f32_e32 v92, 0x3f7c1c5c, v65
	v_mul_f32_e32 v93, 0x3f7c1c5c, v66
	v_fmamk_f32 v94, v44, 0x3f441b7d, v34
	v_fmamk_f32 v95, v45, 0x3f441b7d, v35
	v_fmac_f32_e32 v69, 0x3f7c1c5c, v37
	v_fmac_f32_e32 v70, 0x3f7c1c5c, v62
	;; [unrolled: 1-line block ×8, first 2 shown]
	v_add_f32_e32 v96, v67, v90
	v_add_f32_e32 v97, v68, v91
	v_fma_f32 v92, 0xbf248dbb, v37, -v92
	v_fma_f32 v93, 0xbf248dbb, v62, -v93
	v_add_f32_e32 v90, v46, v90
	v_add_f32_e32 v91, v61, v91
	v_fmac_f32_e32 v94, 0x3e31d0d4, v67
	v_fmac_f32_e32 v95, 0x3e31d0d4, v68
	v_add_f32_e32 v88, v65, v36
	v_add_f32_e32 v89, v66, v47
	;; [unrolled: 1-line block ×4, first 2 shown]
	v_fmac_f32_e32 v69, 0x3f5db3d7, v38
	v_fmac_f32_e32 v70, 0x3f5db3d7, v41
	v_fmac_f32_e32 v71, -0.5, v46
	v_fmac_f32_e32 v73, -0.5, v61
	v_fmac_f32_e32 v75, 0xbf5db3d7, v38
	v_fmac_f32_e32 v76, 0xbf5db3d7, v41
	v_fmac_f32_e32 v80, -0.5, v46
	v_fmac_f32_e32 v87, -0.5, v61
	v_fmac_f32_e32 v92, 0x3f5db3d7, v38
	v_fmac_f32_e32 v93, 0x3f5db3d7, v41
	v_add_f32_e32 v38, v39, v90
	v_add_f32_e32 v39, v72, v91
	v_fmac_f32_e32 v94, -0.5, v46
	v_fmac_f32_e32 v95, -0.5, v61
	v_sub_f32_e32 v88, v88, v37
	v_sub_f32_e32 v89, v89, v62
	v_fmac_f32_e32 v32, -0.5, v96
	v_fmac_f32_e32 v33, -0.5, v97
	v_fmac_f32_e32 v69, 0x3eaf1d44, v65
	v_fmac_f32_e32 v70, 0x3eaf1d44, v66
	;; [unrolled: 1-line block ×10, first 2 shown]
	v_add_f32_e32 v36, v40, v38
	v_add_f32_e32 v37, v74, v39
	v_fmac_f32_e32 v94, 0xbf708fb2, v42
	v_fmac_f32_e32 v95, 0xbf708fb2, v43
	v_mul_f32_e32 v98, 0x3f5db3d7, v88
	v_mul_f32_e32 v99, 0x3f5db3d7, v89
	v_fmac_f32_e32 v32, 0x3f5db3d7, v89
	v_fmac_f32_e32 v33, 0xbf5db3d7, v88
	v_add_f32_e32 v44, v70, v71
	v_sub_f32_e32 v45, v73, v69
	v_add_f32_e32 v46, v76, v80
	v_sub_f32_e32 v47, v87, v75
	v_add_f32_e32 v61, v36, v34
	v_add_f32_e32 v62, v37, v35
	;; [unrolled: 1-line block ×3, first 2 shown]
	v_sub_f32_e32 v35, v95, v92
	v_fma_f32 v42, -2.0, v99, v32
	v_fma_f32 v43, 2.0, v98, v33
	v_fma_f32 v38, -2.0, v70, v44
	v_fma_f32 v39, 2.0, v69, v45
	v_fma_f32 v36, -2.0, v76, v46
	v_fma_f32 v40, -2.0, v93, v34
	v_fma_f32 v41, 2.0, v92, v35
	v_fma_f32 v37, 2.0, v75, v47
	ds_write_b64 v83, v[61:62]
	ds_write2_b64 v81, v[44:45], v[46:47] offset0:51 offset1:102
	ds_write2_b64 v81, v[32:33], v[34:35] offset0:153 offset1:204
	;; [unrolled: 1-line block ×4, first 2 shown]
	s_waitcnt lgkmcnt(0)
	s_barrier
	buffer_gl0_inv
	s_and_saveexec_b32 s1, vcc_lo
	s_cbranch_execz .LBB0_9
; %bb.8:
	v_add_co_u32 v71, s0, s12, v77
	v_add_co_ci_u32_e64 v72, null, s13, 0, s0
	v_add_co_u32 v65, s0, 0x800, v71
	v_add_co_ci_u32_e64 v66, s0, 0, v72, s0
	v_add_co_u32 v67, s0, 0xe58, v71
	v_add_co_ci_u32_e64 v68, s0, 0, v72, s0
	global_load_dwordx2 v[65:66], v[65:66], off offset:1624
	v_add_co_u32 v69, s0, 0x1000, v71
	v_add_co_ci_u32_e64 v70, s0, 0, v72, s0
	s_clause 0xa
	global_load_dwordx2 v[107:108], v[67:68], off offset:216
	global_load_dwordx2 v[109:110], v[67:68], off offset:432
	;; [unrolled: 1-line block ×11, first 2 shown]
	v_add_co_u32 v67, s0, 0x1800, v71
	v_add_co_ci_u32_e64 v68, s0, 0, v72, s0
	s_clause 0x4
	global_load_dwordx2 v[129:130], v[67:68], off offset:120
	global_load_dwordx2 v[131:132], v[67:68], off offset:336
	;; [unrolled: 1-line block ×5, first 2 shown]
	ds_read_b64 v[67:68], v83
	s_waitcnt vmcnt(16) lgkmcnt(0)
	v_mul_f32_e32 v69, v68, v66
	v_mul_f32_e32 v70, v67, v66
	v_fma_f32 v69, v67, v65, -v69
	v_fmac_f32_e32 v70, v68, v65
	ds_write_b64 v83, v[69:70]
	ds_read2_b64 v[65:68], v81 offset0:27 offset1:54
	ds_read2_b64 v[69:72], v81 offset0:81 offset1:108
	;; [unrolled: 1-line block ×8, first 2 shown]
	s_waitcnt vmcnt(15) lgkmcnt(7)
	v_mul_f32_e32 v80, v66, v108
	v_mul_f32_e32 v139, v65, v108
	s_waitcnt vmcnt(14)
	v_mul_f32_e32 v140, v68, v110
	v_mul_f32_e32 v108, v67, v110
	s_waitcnt vmcnt(13) lgkmcnt(6)
	v_mul_f32_e32 v141, v70, v112
	v_mul_f32_e32 v110, v69, v112
	s_waitcnt vmcnt(12)
	v_mul_f32_e32 v142, v72, v114
	v_mul_f32_e32 v112, v71, v114
	;; [unrolled: 6-line block ×4, first 2 shown]
	s_waitcnt vmcnt(5) lgkmcnt(3)
	v_mul_f32_e32 v147, v92, v128
	v_mul_f32_e32 v122, v91, v128
	;; [unrolled: 1-line block ×4, first 2 shown]
	s_waitcnt lgkmcnt(2)
	v_mul_f32_e32 v149, v96, v126
	v_mul_f32_e32 v124, v95, v126
	s_waitcnt vmcnt(4)
	v_mul_f32_e32 v150, v98, v130
	v_mul_f32_e32 v126, v97, v130
	s_waitcnt vmcnt(3) lgkmcnt(1)
	v_mul_f32_e32 v151, v100, v132
	v_mul_f32_e32 v130, v99, v132
	s_waitcnt vmcnt(2)
	v_mul_f32_e32 v152, v102, v134
	v_mul_f32_e32 v132, v101, v134
	s_waitcnt vmcnt(1) lgkmcnt(0)
	v_mul_f32_e32 v153, v104, v136
	v_mul_f32_e32 v134, v103, v136
	s_waitcnt vmcnt(0)
	v_mul_f32_e32 v154, v106, v138
	v_mul_f32_e32 v136, v105, v138
	v_fma_f32 v138, v65, v107, -v80
	v_fmac_f32_e32 v139, v66, v107
	v_fma_f32 v107, v67, v109, -v140
	v_fmac_f32_e32 v108, v68, v109
	;; [unrolled: 2-line block ×16, first 2 shown]
	ds_write2_b64 v81, v[138:139], v[107:108] offset0:27 offset1:54
	ds_write2_b64 v81, v[109:110], v[111:112] offset0:81 offset1:108
	ds_write2_b64 v81, v[113:114], v[115:116] offset0:135 offset1:162
	ds_write2_b64 v81, v[117:118], v[119:120] offset0:189 offset1:216
	ds_write2_b64 v63, v[121:122], v[127:128] offset0:115 offset1:142
	ds_write2_b64 v64, v[123:124], v[125:126] offset0:41 offset1:68
	ds_write2_b64 v64, v[129:130], v[131:132] offset0:95 offset1:122
	ds_write2_b64 v64, v[133:134], v[135:136] offset0:149 offset1:176
.LBB0_9:
	s_or_b32 exec_lo, exec_lo, s1
	s_waitcnt lgkmcnt(0)
	s_barrier
	buffer_gl0_inv
	s_and_saveexec_b32 s0, vcc_lo
	s_cbranch_execz .LBB0_11
; %bb.10:
	v_add_nc_u32_e32 v0, 0x400, v83
	v_add_nc_u32_e32 v1, 0x800, v83
	ds_read2_b64 v[49:52], v0 offset0:115 offset1:142
	ds_read2_b64 v[63:66], v1 offset0:41 offset1:68
	;; [unrolled: 1-line block ×4, first 2 shown]
	ds_read_b64 v[61:62], v83
	ds_read2_b64 v[44:47], v83 offset0:27 offset1:54
	ds_read2_b64 v[32:35], v83 offset0:81 offset1:108
	;; [unrolled: 1-line block ×4, first 2 shown]
	s_waitcnt lgkmcnt(8)
	v_mov_b32_e32 v59, v49
	v_mov_b32_e32 v60, v50
	v_mov_b32_e32 v57, v51
	v_mov_b32_e32 v58, v52
	s_waitcnt lgkmcnt(7)
	v_mov_b32_e32 v55, v63
	v_mov_b32_e32 v56, v64
	v_mov_b32_e32 v53, v65
	v_mov_b32_e32 v54, v66
	;; [unrolled: 5-line block ×3, first 2 shown]
.LBB0_11:
	s_or_b32 exec_lo, exec_lo, s0
	s_waitcnt lgkmcnt(0)
	s_barrier
	buffer_gl0_inv
	s_and_saveexec_b32 s0, vcc_lo
	s_cbranch_execz .LBB0_13
; %bb.12:
	v_add_f32_e32 v76, v3, v45
	v_sub_f32_e32 v92, v44, v2
	v_add_f32_e32 v206, v1, v47
	v_sub_f32_e32 v88, v46, v0
	v_add_f32_e32 v204, v50, v33
	v_mul_f32_e32 v106, 0xbf7ba420, v76
	v_sub_f32_e32 v89, v32, v49
	v_mul_f32_e32 v108, 0x3f6eb680, v206
	v_add_f32_e32 v199, v52, v35
	v_mul_f32_e32 v109, 0xbf59a7d5, v204
	v_fmamk_f32 v63, v92, 0x3e3c28d5, v106
	v_sub_f32_e32 v87, v34, v51
	v_fmamk_f32 v64, v88, 0xbeb8f4ab, v108
	v_add_f32_e32 v200, v54, v41
	v_mul_f32_e32 v110, 0x3f3d2fb0, v199
	v_add_f32_e32 v63, v62, v63
	v_fmamk_f32 v65, v89, 0x3f06c442, v109
	v_sub_f32_e32 v166, v45, v3
	v_sub_f32_e32 v90, v40, v53
	v_add_f32_e32 v75, v56, v43
	v_add_f32_e32 v63, v64, v63
	;; [unrolled: 1-line block ×3, first 2 shown]
	v_mul_f32_e32 v115, 0xbf1a4643, v200
	v_fmamk_f32 v64, v87, 0xbf2c7751, v110
	v_sub_f32_e32 v167, v47, v1
	v_add_f32_e32 v63, v65, v63
	v_mul_f32_e32 v114, 0xbe3c28d5, v166
	v_sub_f32_e32 v91, v42, v55
	v_mul_f32_e32 v112, 0x3ee437d1, v75
	v_fmamk_f32 v65, v90, 0x3f4c4adb, v115
	v_add_f32_e32 v63, v64, v63
	v_add_f32_e32 v95, v0, v46
	v_mul_f32_e32 v113, 0x3eb8f4ab, v167
	v_fmamk_f32 v66, v94, 0xbf7ba420, v114
	v_sub_f32_e32 v179, v33, v50
	v_fmamk_f32 v64, v91, 0xbf65296c, v112
	v_add_f32_e32 v63, v65, v63
	v_fmamk_f32 v65, v95, 0x3f6eb680, v113
	v_add_f32_e32 v66, v61, v66
	v_add_f32_e32 v97, v49, v32
	v_mul_f32_e32 v107, 0xbf06c442, v179
	v_sub_f32_e32 v186, v35, v52
	v_add_f32_e32 v189, v58, v37
	v_add_f32_e32 v63, v64, v63
	;; [unrolled: 1-line block ×3, first 2 shown]
	v_fmamk_f32 v65, v97, 0xbf59a7d5, v107
	v_add_f32_e32 v98, v51, v34
	v_mul_f32_e32 v103, 0x3f2c7751, v186
	v_sub_f32_e32 v187, v41, v54
	v_mul_f32_e32 v111, 0xbe8c1d8e, v189
	v_sub_f32_e32 v93, v36, v57
	v_add_f32_e32 v192, v60, v39
	v_add_f32_e32 v64, v65, v64
	v_fmamk_f32 v65, v98, 0x3f3d2fb0, v103
	v_add_f32_e32 v99, v53, v40
	v_mul_f32_e32 v104, 0xbf4c4adb, v187
	v_sub_f32_e32 v183, v43, v56
	v_fmamk_f32 v66, v93, 0x3f763a35, v111
	v_mul_f32_e32 v118, 0x3dbcf732, v192
	v_sub_f32_e32 v96, v38, v59
	v_add_f32_e32 v64, v65, v64
	v_fmamk_f32 v65, v99, 0xbf1a4643, v104
	v_add_f32_e32 v100, v55, v42
	v_mul_f32_e32 v105, 0x3f65296c, v183
	v_mul_f32_e32 v133, 0xbf59a7d5, v76
	v_add_f32_e32 v63, v66, v63
	v_fmamk_f32 v66, v96, 0xbf7ee86f, v118
	v_add_f32_e32 v65, v65, v64
	v_fmamk_f32 v67, v100, 0x3ee437d1, v105
	v_fmamk_f32 v68, v92, 0x3f06c442, v133
	v_mul_f32_e32 v119, 0x3ee437d1, v206
	v_add_f32_e32 v64, v66, v63
	v_sub_f32_e32 v190, v37, v58
	v_add_f32_e32 v63, v67, v65
	v_add_f32_e32 v65, v62, v68
	v_fmamk_f32 v66, v88, 0xbf65296c, v119
	v_mul_f32_e32 v120, 0x3dbcf732, v204
	v_add_f32_e32 v102, v57, v36
	v_mul_f32_e32 v116, 0xbf763a35, v190
	v_sub_f32_e32 v191, v39, v60
	v_add_f32_e32 v65, v66, v65
	v_fmamk_f32 v66, v89, 0x3f7ee86f, v120
	v_mul_f32_e32 v124, 0xbf1a4643, v199
	v_fmamk_f32 v67, v102, 0xbe8c1d8e, v116
	v_add_f32_e32 v101, v59, v38
	v_mul_f32_e32 v117, 0x3f7ee86f, v191
	v_add_f32_e32 v65, v66, v65
	v_fmamk_f32 v66, v87, 0xbf4c4adb, v124
	v_mul_f32_e32 v125, 0x3f6eb680, v200
	v_add_f32_e32 v63, v67, v63
	v_fmamk_f32 v67, v101, 0x3dbcf732, v117
	;; [unrolled: 3-line block ×93, first 2 shown]
	v_mul_f32_e32 v220, 0x3ee437d1, v204
	v_add_f32_e32 v45, v45, v62
	v_add_f32_e32 v80, v221, v80
	v_fmamk_f32 v232, v100, 0xbe8c1d8e, v206
	v_mul_f32_e32 v204, 0x3f65296c, v190
	v_add_f32_e32 v230, v231, v230
	v_fmamk_f32 v231, v89, 0x3f65296c, v220
	v_mul_f32_e32 v221, 0x3dbcf732, v199
	v_add_f32_e32 v47, v47, v45
	v_add_f32_e32 v44, v44, v61
	;; [unrolled: 1-line block ×3, first 2 shown]
	v_fmamk_f32 v232, v102, 0x3ee437d1, v204
	v_mul_f32_e32 v199, 0x3eb8f4ab, v191
	v_add_f32_e32 v230, v231, v230
	v_fmamk_f32 v231, v87, 0x3f7ee86f, v221
	v_mul_f32_e32 v200, 0xbe8c1d8e, v200
	v_add_f32_e32 v33, v33, v47
	v_add_f32_e32 v46, v46, v44
	;; [unrolled: 1-line block ×3, first 2 shown]
	v_fmamk_f32 v232, v101, 0x3f6eb680, v199
	v_add_f32_e32 v230, v231, v230
	v_fmamk_f32 v231, v90, 0x3f763a35, v200
	v_mul_f32_e32 v45, 0xbf1a4643, v75
	v_add_f32_e32 v33, v35, v33
	v_add_f32_e32 v32, v32, v46
	;; [unrolled: 1-line block ×4, first 2 shown]
	v_fmamk_f32 v47, v91, 0x3f4c4adb, v45
	v_mul_f32_e32 v166, 0xbeb8f4ab, v166
	v_add_f32_e32 v33, v41, v33
	v_add_f32_e32 v32, v34, v32
	v_mul_f32_e32 v44, 0xbf59a7d5, v189
	v_add_f32_e32 v35, v47, v80
	v_fmamk_f32 v47, v94, 0x3f6eb680, v166
	v_mul_f32_e32 v80, 0xbf2c7751, v167
	v_add_f32_e32 v33, v43, v33
	v_add_f32_e32 v32, v40, v32
	v_mul_f32_e32 v43, 0xbf65296c, v179
	v_add_f32_e32 v41, v61, v47
	v_fmamk_f32 v40, v95, 0x3f3d2fb0, v80
	v_add_f32_e32 v33, v37, v33
	v_add_f32_e32 v32, v42, v32
	v_fmamk_f32 v46, v93, 0x3f06c442, v44
	v_mul_f32_e32 v34, 0xbf7ba420, v192
	v_add_f32_e32 v37, v40, v41
	v_fmamk_f32 v40, v97, 0x3ee437d1, v43
	v_add_f32_e32 v33, v39, v33
	v_add_f32_e32 v32, v36, v32
	;; [unrolled: 1-line block ×3, first 2 shown]
	v_mul_f32_e32 v167, 0xbf7ee86f, v186
	v_fmamk_f32 v36, v96, 0x3e3c28d5, v34
	v_add_f32_e32 v37, v40, v37
	v_add_f32_e32 v40, v60, v33
	;; [unrolled: 1-line block ×3, first 2 shown]
	v_fmamk_f32 v39, v98, 0x3dbcf732, v167
	v_add_f32_e32 v33, v36, v35
	v_mul_f32_e32 v60, 0xbf763a35, v187
	v_add_f32_e32 v36, v58, v40
	v_add_f32_e32 v32, v59, v32
	v_fmac_f32_e32 v106, 0xbe3c28d5, v92
	v_add_f32_e32 v35, v39, v37
	v_fmamk_f32 v37, v99, 0xbe8c1d8e, v60
	v_mul_f32_e32 v58, 0xbf4c4adb, v183
	v_add_f32_e32 v36, v56, v36
	v_add_f32_e32 v32, v57, v32
	;; [unrolled: 1-line block ×3, first 2 shown]
	v_fmac_f32_e32 v108, 0x3eb8f4ab, v88
	v_add_f32_e32 v35, v37, v35
	v_fmamk_f32 v37, v100, 0xbf1a4643, v58
	v_add_f32_e32 v36, v54, v36
	v_add_f32_e32 v32, v55, v32
	v_add_f32_e32 v38, v108, v38
	v_fmac_f32_e32 v109, 0xbf06c442, v89
	v_add_f32_e32 v35, v37, v35
	v_mul_f32_e32 v54, 0xbf06c442, v190
	v_add_f32_e32 v36, v52, v36
	v_add_f32_e32 v32, v53, v32
	;; [unrolled: 1-line block ×3, first 2 shown]
	v_fmac_f32_e32 v110, 0x3f2c7751, v87
	v_fmamk_f32 v38, v102, 0xbf59a7d5, v54
	v_mul_f32_e32 v52, 0xbe3c28d5, v191
	v_add_f32_e32 v36, v50, v36
	v_add_f32_e32 v32, v51, v32
	v_add_f32_e32 v37, v110, v37
	v_fmac_f32_e32 v115, 0xbf4c4adb, v90
	v_add_f32_e32 v35, v38, v35
	v_fmamk_f32 v38, v101, 0xbf7ba420, v52
	v_add_f32_e32 v1, v1, v36
	v_add_f32_e32 v36, v49, v32
	;; [unrolled: 1-line block ×3, first 2 shown]
	v_fmac_f32_e32 v112, 0x3f65296c, v91
	v_add_f32_e32 v32, v38, v35
	v_fma_f32 v35, 0xbf7ba420, v94, -v114
	v_add_f32_e32 v1, v3, v1
	v_add_f32_e32 v0, v0, v36
	;; [unrolled: 1-line block ×3, first 2 shown]
	v_fmac_f32_e32 v111, 0xbf763a35, v93
	v_add_f32_e32 v35, v61, v35
	v_fma_f32 v36, 0x3f6eb680, v95, -v113
	v_add_f32_e32 v0, v2, v0
	v_fmac_f32_e32 v133, 0xbf06c442, v92
	v_add_f32_e32 v2, v111, v3
	v_fmac_f32_e32 v118, 0x3f7ee86f, v96
	v_add_f32_e32 v35, v36, v35
	v_fma_f32 v36, 0xbf59a7d5, v97, -v107
	v_add_f32_e32 v37, v62, v133
	v_fmac_f32_e32 v119, 0x3f65296c, v88
	v_add_f32_e32 v3, v118, v2
	v_fma_f32 v2, 0xbf59a7d5, v94, -v137
	v_add_f32_e32 v35, v36, v35
	v_fma_f32 v36, 0x3f3d2fb0, v98, -v103
	v_add_f32_e32 v37, v119, v37
	v_fmac_f32_e32 v120, 0xbf7ee86f, v89
	v_add_f32_e32 v2, v61, v2
	v_fma_f32 v38, 0x3ee437d1, v95, -v138
	;; [unrolled: 6-line block ×6, first 2 shown]
	v_fmac_f32_e32 v135, 0xbf4c4adb, v92
	v_add_f32_e32 v2, v36, v35
	v_add_f32_e32 v35, v126, v37
	v_fmac_f32_e32 v127, 0xbf763a35, v96
	v_add_f32_e32 v37, v39, v38
	v_fma_f32 v38, 0x3f3d2fb0, v102, -v147
	v_add_f32_e32 v39, v62, v135
	v_fmac_f32_e32 v132, 0x3f763a35, v88
	v_add_f32_e32 v36, v127, v35
	v_fma_f32 v35, 0xbf1a4643, v94, -v149
	v_add_f32_e32 v37, v38, v37
	v_fma_f32 v38, 0xbe8c1d8e, v101, -v134
	v_add_f32_e32 v39, v132, v39
	v_fmac_f32_e32 v121, 0xbeb8f4ab, v89
	v_add_f32_e32 v40, v61, v35
	v_fma_f32 v41, 0xbe8c1d8e, v95, -v151
	v_add_f32_e32 v35, v38, v37
	v_fmac_f32_e32 v169, 0xbf763a35, v92
	v_add_f32_e32 v37, v121, v39
	v_fmac_f32_e32 v122, 0xbf06c442, v87
	v_add_f32_e32 v38, v41, v40
	v_fma_f32 v39, 0x3f6eb680, v97, -v140
	v_add_f32_e32 v40, v62, v169
	v_fmac_f32_e32 v170, 0x3f06c442, v88
	;; [unrolled: 6-line block ×6, first 2 shown]
	v_add_f32_e32 v38, v130, v37
	v_fma_f32 v37, 0xbe8c1d8e, v94, -v174
	v_add_f32_e32 v39, v41, v39
	v_fma_f32 v41, 0x3ee437d1, v101, -v143
	v_add_f32_e32 v40, v175, v40
	v_fmac_f32_e32 v155, 0xbeb8f4ab, v93
	v_add_f32_e32 v42, v61, v37
	v_fma_f32 v46, 0xbf59a7d5, v95, -v176
	v_fmac_f32_e32 v188, 0xbf7ee86f, v92
	v_add_f32_e32 v37, v41, v39
	v_add_f32_e32 v39, v155, v40
	v_fmac_f32_e32 v156, 0xbf4c4adb, v96
	v_add_f32_e32 v41, v46, v42
	v_fma_f32 v42, 0x3f3d2fb0, v97, -v157
	v_add_f32_e32 v46, v62, v188
	v_fmac_f32_e32 v160, 0xbe3c28d5, v88
	v_add_f32_e32 v40, v156, v39
	v_fma_f32 v39, 0x3dbcf732, v94, -v197
	v_add_f32_e32 v41, v42, v41
	v_fma_f32 v42, 0x3ee437d1, v98, -v136
	v_add_f32_e32 v46, v160, v46
	v_fmac_f32_e32 v161, 0x3f763a35, v89
	v_add_f32_e32 v39, v61, v39
	v_fma_f32 v47, 0xbf7ba420, v95, -v198
	;; [unrolled: 6-line block ×6, first 2 shown]
	v_add_f32_e32 v39, v42, v41
	v_fmac_f32_e32 v196, 0xbf65296c, v92
	v_add_f32_e32 v41, v177, v46
	v_fmac_f32_e32 v178, 0x3f2c7751, v96
	v_add_f32_e32 v46, v49, v47
	v_fma_f32 v47, 0xbf1a4643, v102, -v209
	v_add_f32_e32 v49, v62, v196
	v_fmac_f32_e32 v185, 0xbf4c4adb, v88
	v_add_f32_e32 v42, v178, v41
	v_fma_f32 v41, 0x3ee437d1, v94, -v210
	v_add_f32_e32 v46, v47, v46
	v_fma_f32 v47, 0x3f3d2fb0, v101, -v193
	v_add_f32_e32 v49, v185, v49
	v_fmac_f32_e32 v162, 0x3e3c28d5, v89
	v_add_f32_e32 v50, v61, v41
	v_fma_f32 v51, 0xbf1a4643, v95, -v211
	v_fmac_f32_e32 v222, 0xbf2c7751, v92
	v_add_f32_e32 v41, v47, v46
	v_add_f32_e32 v46, v162, v49
	v_fmac_f32_e32 v163, 0x3f763a35, v87
	v_add_f32_e32 v47, v51, v50
	v_fma_f32 v49, 0xbf7ba420, v97, -v202
	v_add_f32_e32 v50, v62, v222
	v_fmac_f32_e32 v223, 0xbf7ee86f, v88
	v_add_f32_e32 v46, v163, v46
	v_fmac_f32_e32 v164, 0x3f2c7751, v90
	v_add_f32_e32 v47, v49, v47
	v_fma_f32 v49, 0xbe8c1d8e, v98, -v203
	v_add_f32_e32 v50, v223, v50
	v_fmac_f32_e32 v224, 0xbf4c4adb, v89
	;; [unrolled: 6-line block ×5, first 2 shown]
	v_add_f32_e32 v47, v182, v46
	v_fma_f32 v46, 0x3f3d2fb0, v94, -v227
	v_add_f32_e32 v49, v51, v49
	v_fma_f32 v51, 0xbf59a7d5, v101, -v207
	v_add_f32_e32 v50, v228, v50
	v_fmac_f32_e32 v215, 0x3f65296c, v93
	v_add_f32_e32 v53, v61, v46
	v_fma_f32 v55, 0x3dbcf732, v95, -v229
	v_add_f32_e32 v46, v51, v49
	v_fmac_f32_e32 v217, 0xbeb8f4ab, v92
	;; [unrolled: 4-line block ×3, first 2 shown]
	v_add_f32_e32 v55, v62, v217
	v_fma_f32 v56, 0x3f3d2fb0, v95, -v80
	v_add_f32_e32 v50, v61, v50
	v_fma_f32 v53, 0xbf1a4643, v97, -v194
	v_fmac_f32_e32 v220, 0xbf65296c, v89
	v_add_f32_e32 v55, v219, v55
	v_fma_f32 v43, 0x3ee437d1, v97, -v43
	v_add_f32_e32 v50, v56, v50
	v_add_f32_e32 v51, v53, v51
	v_fma_f32 v53, 0xbf7ba420, v98, -v195
	v_add_f32_e32 v55, v220, v55
	v_fmac_f32_e32 v221, 0xbf7ee86f, v87
	v_add_f32_e32 v43, v43, v50
	v_fma_f32 v50, 0x3dbcf732, v98, -v167
	v_add_f32_e32 v51, v53, v51
	v_fma_f32 v53, 0xbf59a7d5, v99, -v208
	v_add_f32_e32 v55, v221, v55
	v_fmac_f32_e32 v200, 0xbf763a35, v90
	v_add_f32_e32 v43, v50, v43
	v_fma_f32 v50, 0xbe8c1d8e, v99, -v60
	;; [unrolled: 6-line block ×4, first 2 shown]
	v_and_b32_e32 v54, 0xffff, v233
	v_fmac_f32_e32 v144, 0x3eb8f4ab, v96
	v_add_f32_e32 v51, v53, v51
	v_fma_f32 v53, 0x3f6eb680, v101, -v199
	v_add_f32_e32 v45, v44, v45
	v_fmac_f32_e32 v34, 0xbe3c28d5, v96
	v_add_f32_e32 v55, v50, v43
	v_fma_f32 v52, 0xbf7ba420, v101, -v52
	v_lshl_add_u32 v54, v54, 3, v79
	v_add_f32_e32 v44, v144, v49
	v_add_f32_e32 v43, v53, v51
	;; [unrolled: 1-line block ×4, first 2 shown]
	ds_write2_b64 v54, v[0:1], v[32:33] offset1:1
	ds_write2_b64 v54, v[75:76], v[73:74] offset0:2 offset1:3
	ds_write2_b64 v54, v[71:72], v[69:70] offset0:4 offset1:5
	ds_write2_b64 v54, v[67:68], v[65:66] offset0:6 offset1:7
	ds_write2_b64 v54, v[63:64], v[2:3] offset0:8 offset1:9
	ds_write2_b64 v54, v[35:36], v[37:38] offset0:10 offset1:11
	ds_write2_b64 v54, v[39:40], v[41:42] offset0:12 offset1:13
	ds_write2_b64 v54, v[46:47], v[43:44] offset0:14 offset1:15
	ds_write_b64 v54, v[49:50] offset:128
.LBB0_13:
	s_or_b32 exec_lo, exec_lo, s0
	s_waitcnt lgkmcnt(0)
	s_barrier
	buffer_gl0_inv
	ds_read2_b64 v[0:3], v82 offset0:102 offset1:153
	ds_read2_b64 v[32:35], v82 offset0:204 offset1:255
	v_add_nc_u32_e32 v46, 0x800, v82
	ds_read_b64 v[44:45], v82 offset:3264
	ds_read2_b64 v[36:39], v46 offset0:50 offset1:101
	ds_read2_b64 v[40:43], v82 offset1:51
	s_waitcnt lgkmcnt(0)
	s_barrier
	buffer_gl0_inv
	v_mul_f32_e32 v47, v9, v3
	v_mul_f32_e32 v9, v9, v2
	;; [unrolled: 1-line block ×5, first 2 shown]
	v_fmac_f32_e32 v47, v8, v2
	v_fma_f32 v3, v8, v3, -v9
	v_mul_f32_e32 v8, v11, v37
	v_mul_f32_e32 v13, v13, v34
	;; [unrolled: 1-line block ×5, first 2 shown]
	v_fmac_f32_e32 v49, v4, v32
	v_fma_f32 v9, v4, v33, -v5
	v_mul_f32_e32 v11, v7, v39
	v_mul_f32_e32 v4, v7, v38
	v_fmac_f32_e32 v8, v10, v36
	v_fmac_f32_e32 v50, v12, v34
	v_fma_f32 v12, v12, v35, -v13
	v_fmac_f32_e32 v51, v14, v44
	v_fma_f32 v13, v14, v45, -v15
	v_fma_f32 v7, v10, v37, -v2
	v_fmac_f32_e32 v11, v6, v38
	v_fma_f32 v14, v6, v39, -v4
	v_add_f32_e32 v4, v47, v8
	v_add_f32_e32 v2, v40, v47
	;; [unrolled: 1-line block ×4, first 2 shown]
	v_sub_f32_e32 v10, v3, v7
	v_fma_f32 v4, -0.5, v4, v40
	v_add_f32_e32 v15, v49, v11
	v_add_f32_e32 v2, v2, v8
	v_sub_f32_e32 v8, v47, v8
	v_fma_f32 v5, -0.5, v5, v41
	v_add_f32_e32 v3, v6, v7
	v_fmamk_f32 v6, v10, 0xbf5db3d7, v4
	v_fmac_f32_e32 v4, 0x3f5db3d7, v10
	v_add_f32_e32 v10, v42, v49
	v_add_f32_e32 v32, v9, v14
	v_fma_f32 v42, -0.5, v15, v42
	v_sub_f32_e32 v15, v9, v14
	v_add_f32_e32 v9, v43, v9
	v_fmamk_f32 v7, v8, 0x3f5db3d7, v5
	v_fmac_f32_e32 v5, 0xbf5db3d7, v8
	v_add_f32_e32 v8, v10, v11
	v_fmac_f32_e32 v43, -0.5, v32
	v_sub_f32_e32 v32, v49, v11
	v_fmamk_f32 v10, v15, 0xbf5db3d7, v42
	v_fmac_f32_e32 v42, 0x3f5db3d7, v15
	v_add_f32_e32 v9, v9, v14
	v_add_f32_e32 v14, v50, v51
	;; [unrolled: 1-line block ×3, first 2 shown]
	v_fmamk_f32 v11, v32, 0x3f5db3d7, v43
	v_fmac_f32_e32 v43, 0xbf5db3d7, v32
	v_add_f32_e32 v32, v0, v50
	v_fma_f32 v0, -0.5, v14, v0
	v_sub_f32_e32 v33, v12, v13
	v_add_f32_e32 v34, v1, v12
	v_fmac_f32_e32 v1, -0.5, v15
	v_sub_f32_e32 v35, v50, v51
	v_add_f32_e32 v12, v32, v51
	v_fmamk_f32 v14, v33, 0xbf5db3d7, v0
	v_fmac_f32_e32 v0, 0x3f5db3d7, v33
	v_add_f32_e32 v13, v34, v13
	v_fmamk_f32 v15, v35, 0x3f5db3d7, v1
	v_fmac_f32_e32 v1, 0xbf5db3d7, v35
	ds_write2_b64 v86, v[2:3], v[6:7] offset1:17
	ds_write_b64 v86, v[4:5] offset:272
	ds_write2_b64 v85, v[8:9], v[10:11] offset1:17
	ds_write_b64 v85, v[42:43] offset:272
	;; [unrolled: 2-line block ×3, first 2 shown]
	s_waitcnt lgkmcnt(0)
	s_barrier
	buffer_gl0_inv
	ds_read2_b64 v[0:3], v82 offset1:51
	ds_read2_b64 v[4:7], v82 offset0:102 offset1:153
	ds_read2_b64 v[8:11], v82 offset0:204 offset1:255
	;; [unrolled: 1-line block ×3, first 2 shown]
	ds_read_b64 v[32:33], v82 offset:3264
	s_waitcnt lgkmcnt(4)
	v_mul_f32_e32 v34, v29, v3
	s_waitcnt lgkmcnt(3)
	v_mul_f32_e32 v35, v25, v7
	v_mul_f32_e32 v25, v25, v6
	v_fmac_f32_e32 v34, v28, v2
	v_mul_f32_e32 v2, v29, v2
	v_mul_f32_e32 v29, v31, v5
	;; [unrolled: 1-line block ×3, first 2 shown]
	v_fmac_f32_e32 v35, v24, v6
	s_waitcnt lgkmcnt(2)
	v_mul_f32_e32 v6, v21, v10
	v_fma_f32 v2, v28, v3, -v2
	v_fmac_f32_e32 v29, v30, v4
	v_fma_f32 v3, v30, v5, -v31
	v_mul_f32_e32 v5, v27, v8
	v_fma_f32 v4, v24, v7, -v25
	v_mul_f32_e32 v24, v27, v9
	v_mul_f32_e32 v25, v21, v11
	s_waitcnt lgkmcnt(1)
	v_mul_f32_e32 v7, v23, v13
	v_fma_f32 v21, v26, v9, -v5
	s_waitcnt lgkmcnt(0)
	v_mul_f32_e32 v5, v19, v33
	v_fmac_f32_e32 v24, v26, v8
	v_mul_f32_e32 v8, v19, v32
	v_mul_f32_e32 v9, v17, v15
	v_fmac_f32_e32 v25, v20, v10
	v_fmac_f32_e32 v5, v18, v32
	v_mul_f32_e32 v10, v17, v14
	v_fma_f32 v8, v18, v33, -v8
	v_fma_f32 v20, v20, v11, -v6
	v_fmac_f32_e32 v7, v22, v12
	v_mul_f32_e32 v6, v23, v12
	v_fmac_f32_e32 v9, v16, v14
	v_sub_f32_e32 v12, v34, v5
	v_fma_f32 v10, v16, v15, -v10
	v_sub_f32_e32 v14, v2, v8
	v_fma_f32 v6, v22, v13, -v6
	v_add_f32_e32 v13, v34, v5
	v_sub_f32_e32 v16, v29, v9
	v_mul_f32_e32 v5, 0x3f248dbb, v12
	v_add_f32_e32 v15, v2, v8
	v_sub_f32_e32 v17, v3, v10
	v_mul_f32_e32 v8, 0x3f248dbb, v14
	v_sub_f32_e32 v27, v24, v25
	v_sub_f32_e32 v28, v21, v20
	v_add_f32_e32 v30, v24, v25
	v_sub_f32_e32 v19, v35, v7
	v_fmac_f32_e32 v5, 0x3f7c1c5c, v16
	v_add_f32_e32 v18, v29, v9
	v_sub_f32_e32 v22, v4, v6
	v_fmac_f32_e32 v8, 0x3f7c1c5c, v17
	v_add_f32_e32 v23, v3, v10
	v_fmamk_f32 v2, v13, 0x3f441b7d, v0
	v_add_f32_e32 v29, v4, v6
	v_mul_f32_e32 v9, 0xbf248dbb, v27
	v_mul_f32_e32 v10, 0xbf248dbb, v28
	v_fmamk_f32 v6, v30, 0x3f441b7d, v0
	v_fmac_f32_e32 v5, 0x3f5db3d7, v19
	v_add_f32_e32 v26, v35, v7
	v_fmac_f32_e32 v8, 0x3f5db3d7, v22
	v_fmac_f32_e32 v2, 0x3e31d0d4, v18
	v_fmac_f32_e32 v9, 0x3f7c1c5c, v12
	v_fmac_f32_e32 v10, 0x3f7c1c5c, v14
	v_fmac_f32_e32 v6, 0x3e31d0d4, v13
	v_fmac_f32_e32 v5, 0x3eaf1d44, v27
	v_add_f32_e32 v11, v27, v12
	v_mul_f32_e32 v27, 0x3f7c1c5c, v27
	v_fmac_f32_e32 v8, 0x3eaf1d44, v28
	v_fmac_f32_e32 v2, -0.5, v26
	v_fmac_f32_e32 v9, 0xbf5db3d7, v19
	v_fmac_f32_e32 v10, 0xbf5db3d7, v22
	v_fmac_f32_e32 v6, -0.5, v26
	v_add_f32_e32 v32, v28, v14
	v_mul_f32_e32 v28, 0x3f7c1c5c, v28
	v_add_f32_e32 v31, v21, v20
	v_fma_f32 v27, 0xbf248dbb, v16, -v27
	v_fmac_f32_e32 v2, 0xbf708fb2, v30
	v_fmac_f32_e32 v9, 0x3eaf1d44, v16
	;; [unrolled: 1-line block ×4, first 2 shown]
	v_sub_f32_e32 v34, v11, v16
	v_sub_f32_e32 v32, v32, v17
	v_fma_f32 v28, 0xbf248dbb, v17, -v28
	v_fmamk_f32 v16, v18, 0x3f441b7d, v0
	v_fmamk_f32 v17, v23, 0x3f441b7d, v1
	;; [unrolled: 1-line block ×4, first 2 shown]
	v_add_f32_e32 v33, v18, v13
	v_add_f32_e32 v35, v23, v15
	v_fmac_f32_e32 v27, 0x3f5db3d7, v19
	v_sub_f32_e32 v2, v2, v8
	v_sub_f32_e32 v6, v6, v10
	v_fmac_f32_e32 v16, 0x3e31d0d4, v30
	v_fmac_f32_e32 v17, 0x3e31d0d4, v31
	;; [unrolled: 1-line block ×6, first 2 shown]
	v_add_f32_e32 v12, v26, v33
	v_add_f32_e32 v18, v29, v35
	v_fma_f32 v4, 2.0, v8, v2
	v_fma_f32 v8, 2.0, v10, v6
	v_add_f32_e32 v10, v26, v0
	v_add_f32_e32 v36, v30, v33
	;; [unrolled: 1-line block ×4, first 2 shown]
	v_fmac_f32_e32 v16, -0.5, v26
	v_fmac_f32_e32 v17, -0.5, v29
	;; [unrolled: 1-line block ×4, first 2 shown]
	v_fmac_f32_e32 v28, 0x3eaf1d44, v14
	v_add_f32_e32 v14, v24, v12
	v_add_f32_e32 v18, v21, v18
	v_fmac_f32_e32 v10, -0.5, v36
	v_fmac_f32_e32 v11, -0.5, v38
	v_fmac_f32_e32 v16, 0xbf708fb2, v13
	v_fmac_f32_e32 v17, 0xbf708fb2, v15
	;; [unrolled: 1-line block ×4, first 2 shown]
	v_add_f32_e32 v19, v25, v14
	v_add_f32_e32 v18, v20, v18
	v_mul_f32_e32 v37, 0x3f5db3d7, v34
	v_mul_f32_e32 v36, 0x3f5db3d7, v32
	v_fmac_f32_e32 v10, 0xbf5db3d7, v32
	v_fmac_f32_e32 v11, 0x3f5db3d7, v34
	v_sub_f32_e32 v14, v16, v28
	v_add_f32_e32 v15, v27, v17
	v_add_f32_e32 v3, v5, v3
	v_add_f32_e32 v7, v9, v7
	v_add_f32_e32 v16, v19, v0
	v_add_f32_e32 v17, v18, v1
	v_add_nc_u32_e32 v1, 0x400, v81
	v_add_nc_u32_e32 v0, 0x800, v81
	v_fma_f32 v12, 2.0, v36, v10
	v_fma_f32 v13, -2.0, v37, v11
	v_fma_f32 v18, 2.0, v28, v14
	v_fma_f32 v19, -2.0, v27, v15
	v_fma_f32 v5, -2.0, v5, v3
	;; [unrolled: 1-line block ×3, first 2 shown]
	ds_write_b64 v83, v[16:17]
	ds_write2_b64 v81, v[2:3], v[6:7] offset0:51 offset1:102
	ds_write2_b64 v81, v[10:11], v[14:15] offset0:153 offset1:204
	;; [unrolled: 1-line block ×4, first 2 shown]
	s_waitcnt lgkmcnt(0)
	s_barrier
	buffer_gl0_inv
	s_and_b32 exec_lo, exec_lo, vcc_lo
	s_cbranch_execz .LBB0_15
; %bb.14:
	global_load_dwordx2 v[2:3], v77, s[12:13]
	ds_read_b64 v[4:5], v83
	s_mov_b32 s0, 0x672e4abd
	s_mov_b32 s1, 0x3f61d8f5
	v_mad_u64_u32 v[8:9], null, s4, v78, 0
	s_mul_i32 s2, s5, 0xd8
	s_mul_i32 s3, s4, 0xd8
	s_waitcnt vmcnt(0) lgkmcnt(0)
	v_mul_f32_e32 v6, v5, v3
	v_mul_f32_e32 v3, v4, v3
	v_fmac_f32_e32 v6, v4, v2
	v_fma_f32 v4, v2, v5, -v3
	v_cvt_f64_f32_e32 v[2:3], v6
	v_cvt_f64_f32_e32 v[4:5], v4
	v_mad_u64_u32 v[6:7], null, s6, v48, 0
	v_mad_u64_u32 v[10:11], null, s7, v48, v[7:8]
	;; [unrolled: 1-line block ×3, first 2 shown]
	v_mov_b32_e32 v7, v10
	s_mul_hi_u32 s5, s4, 0xd8
	v_mul_f64 v[2:3], v[2:3], s[0:1]
	v_mul_f64 v[4:5], v[4:5], s[0:1]
	s_add_i32 s2, s5, s2
	v_mov_b32_e32 v9, v11
	v_cvt_f32_f64_e32 v2, v[2:3]
	v_cvt_f32_f64_e32 v3, v[4:5]
	v_lshlrev_b64 v[4:5], 3, v[6:7]
	v_lshlrev_b64 v[6:7], 3, v[8:9]
	v_add_co_u32 v4, vcc_lo, s14, v4
	v_add_co_ci_u32_e32 v5, vcc_lo, s15, v5, vcc_lo
	v_add_co_u32 v6, vcc_lo, v4, v6
	v_add_co_ci_u32_e32 v7, vcc_lo, v5, v7, vcc_lo
	global_store_dwordx2 v[6:7], v[2:3], off
	global_load_dwordx2 v[8:9], v77, s[12:13] offset:216
	ds_read2_b64 v[2:5], v81 offset0:27 offset1:54
	v_add_co_u32 v6, vcc_lo, v6, s3
	v_add_co_ci_u32_e32 v7, vcc_lo, s2, v7, vcc_lo
	s_waitcnt vmcnt(0) lgkmcnt(0)
	v_mul_f32_e32 v10, v3, v9
	v_mul_f32_e32 v9, v2, v9
	v_fmac_f32_e32 v10, v2, v8
	v_fma_f32 v8, v8, v3, -v9
	v_cvt_f64_f32_e32 v[2:3], v10
	v_cvt_f64_f32_e32 v[8:9], v8
	v_mul_f64 v[2:3], v[2:3], s[0:1]
	v_mul_f64 v[8:9], v[8:9], s[0:1]
	v_cvt_f32_f64_e32 v2, v[2:3]
	v_cvt_f32_f64_e32 v3, v[8:9]
	global_store_dwordx2 v[6:7], v[2:3], off
	global_load_dwordx2 v[2:3], v77, s[12:13] offset:432
	v_add_co_u32 v6, vcc_lo, v6, s3
	v_add_co_ci_u32_e32 v7, vcc_lo, s2, v7, vcc_lo
	s_waitcnt vmcnt(0)
	v_mul_f32_e32 v8, v5, v3
	v_mul_f32_e32 v3, v4, v3
	v_fmac_f32_e32 v8, v4, v2
	v_fma_f32 v4, v2, v5, -v3
	v_cvt_f64_f32_e32 v[2:3], v8
	v_cvt_f64_f32_e32 v[4:5], v4
	v_mul_f64 v[2:3], v[2:3], s[0:1]
	v_mul_f64 v[4:5], v[4:5], s[0:1]
	v_cvt_f32_f64_e32 v2, v[2:3]
	v_cvt_f32_f64_e32 v3, v[4:5]
	global_store_dwordx2 v[6:7], v[2:3], off
	global_load_dwordx2 v[8:9], v77, s[12:13] offset:648
	ds_read2_b64 v[2:5], v81 offset0:81 offset1:108
	v_add_co_u32 v6, vcc_lo, v6, s3
	v_add_co_ci_u32_e32 v7, vcc_lo, s2, v7, vcc_lo
	s_waitcnt vmcnt(0) lgkmcnt(0)
	v_mul_f32_e32 v10, v3, v9
	v_mul_f32_e32 v9, v2, v9
	v_fmac_f32_e32 v10, v2, v8
	v_fma_f32 v8, v8, v3, -v9
	v_cvt_f64_f32_e32 v[2:3], v10
	v_cvt_f64_f32_e32 v[8:9], v8
	v_mul_f64 v[2:3], v[2:3], s[0:1]
	v_mul_f64 v[8:9], v[8:9], s[0:1]
	v_cvt_f32_f64_e32 v2, v[2:3]
	v_cvt_f32_f64_e32 v3, v[8:9]
	global_store_dwordx2 v[6:7], v[2:3], off
	global_load_dwordx2 v[2:3], v77, s[12:13] offset:864
	v_add_co_u32 v6, vcc_lo, v6, s3
	v_add_co_ci_u32_e32 v7, vcc_lo, s2, v7, vcc_lo
	s_waitcnt vmcnt(0)
	v_mul_f32_e32 v8, v5, v3
	v_mul_f32_e32 v3, v4, v3
	v_fmac_f32_e32 v8, v4, v2
	v_fma_f32 v4, v2, v5, -v3
	v_cvt_f64_f32_e32 v[2:3], v8
	v_cvt_f64_f32_e32 v[4:5], v4
	v_mul_f64 v[2:3], v[2:3], s[0:1]
	v_mul_f64 v[4:5], v[4:5], s[0:1]
	v_cvt_f32_f64_e32 v2, v[2:3]
	v_cvt_f32_f64_e32 v3, v[4:5]
	;; [unrolled: 31-line block ×3, first 2 shown]
	global_store_dwordx2 v[6:7], v[2:3], off
	global_load_dwordx2 v[8:9], v77, s[12:13] offset:1512
	ds_read2_b64 v[2:5], v81 offset0:189 offset1:216
	v_add_co_u32 v6, vcc_lo, v6, s3
	v_add_co_ci_u32_e32 v7, vcc_lo, s2, v7, vcc_lo
	s_waitcnt vmcnt(0) lgkmcnt(0)
	v_mul_f32_e32 v10, v3, v9
	v_mul_f32_e32 v9, v2, v9
	v_fmac_f32_e32 v10, v2, v8
	v_fma_f32 v8, v8, v3, -v9
	v_cvt_f64_f32_e32 v[2:3], v10
	v_cvt_f64_f32_e32 v[8:9], v8
	v_mul_f64 v[2:3], v[2:3], s[0:1]
	v_mul_f64 v[8:9], v[8:9], s[0:1]
	v_cvt_f32_f64_e32 v2, v[2:3]
	v_cvt_f32_f64_e32 v3, v[8:9]
	global_store_dwordx2 v[6:7], v[2:3], off
	global_load_dwordx2 v[2:3], v77, s[12:13] offset:1728
	s_waitcnt vmcnt(0)
	v_mul_f32_e32 v8, v5, v3
	v_mul_f32_e32 v3, v4, v3
	v_fmac_f32_e32 v8, v4, v2
	v_fma_f32 v4, v2, v5, -v3
	v_cvt_f64_f32_e32 v[2:3], v8
	v_cvt_f64_f32_e32 v[4:5], v4
	v_mul_f64 v[2:3], v[2:3], s[0:1]
	v_mul_f64 v[4:5], v[4:5], s[0:1]
	v_cvt_f32_f64_e32 v2, v[2:3]
	v_cvt_f32_f64_e32 v3, v[4:5]
	v_add_co_u32 v5, vcc_lo, v6, s3
	v_add_co_ci_u32_e32 v6, vcc_lo, s2, v7, vcc_lo
	global_store_dwordx2 v[5:6], v[2:3], off
	global_load_dwordx2 v[7:8], v77, s[12:13] offset:1944
	ds_read2_b64 v[1:4], v1 offset0:115 offset1:142
	v_add_co_u32 v5, vcc_lo, v5, s3
	v_add_co_ci_u32_e32 v6, vcc_lo, s2, v6, vcc_lo
	s_waitcnt vmcnt(0) lgkmcnt(0)
	v_mul_f32_e32 v9, v2, v8
	v_mul_f32_e32 v8, v1, v8
	v_fmac_f32_e32 v9, v1, v7
	v_fma_f32 v7, v7, v2, -v8
	v_cvt_f64_f32_e32 v[1:2], v9
	v_cvt_f64_f32_e32 v[7:8], v7
	v_mul_f64 v[1:2], v[1:2], s[0:1]
	v_mul_f64 v[7:8], v[7:8], s[0:1]
	v_cvt_f32_f64_e32 v1, v[1:2]
	v_cvt_f32_f64_e32 v2, v[7:8]
	v_add_co_u32 v7, s4, s12, v77
	v_add_co_ci_u32_e64 v8, null, s13, 0, s4
	v_add_co_u32 v7, vcc_lo, 0x800, v7
	v_add_co_ci_u32_e32 v8, vcc_lo, 0, v8, vcc_lo
	global_store_dwordx2 v[5:6], v[1:2], off
	global_load_dwordx2 v[1:2], v[7:8], off offset:112
	v_add_co_u32 v5, vcc_lo, v5, s3
	v_add_co_ci_u32_e32 v6, vcc_lo, s2, v6, vcc_lo
	s_waitcnt vmcnt(0)
	v_mul_f32_e32 v9, v4, v2
	v_mul_f32_e32 v2, v3, v2
	v_fmac_f32_e32 v9, v3, v1
	v_fma_f32 v3, v1, v4, -v2
	v_cvt_f64_f32_e32 v[1:2], v9
	v_cvt_f64_f32_e32 v[3:4], v3
	v_mul_f64 v[1:2], v[1:2], s[0:1]
	v_mul_f64 v[3:4], v[3:4], s[0:1]
	v_cvt_f32_f64_e32 v1, v[1:2]
	v_cvt_f32_f64_e32 v2, v[3:4]
	global_store_dwordx2 v[5:6], v[1:2], off
	global_load_dwordx2 v[9:10], v[7:8], off offset:328
	ds_read2_b64 v[1:4], v0 offset0:41 offset1:68
	v_add_co_u32 v5, vcc_lo, v5, s3
	v_add_co_ci_u32_e32 v6, vcc_lo, s2, v6, vcc_lo
	s_waitcnt vmcnt(0) lgkmcnt(0)
	v_mul_f32_e32 v11, v2, v10
	v_mul_f32_e32 v10, v1, v10
	v_fmac_f32_e32 v11, v1, v9
	v_fma_f32 v9, v9, v2, -v10
	v_cvt_f64_f32_e32 v[1:2], v11
	v_cvt_f64_f32_e32 v[9:10], v9
	v_mul_f64 v[1:2], v[1:2], s[0:1]
	v_mul_f64 v[9:10], v[9:10], s[0:1]
	v_cvt_f32_f64_e32 v1, v[1:2]
	v_cvt_f32_f64_e32 v2, v[9:10]
	global_store_dwordx2 v[5:6], v[1:2], off
	global_load_dwordx2 v[1:2], v[7:8], off offset:544
	v_add_co_u32 v5, vcc_lo, v5, s3
	v_add_co_ci_u32_e32 v6, vcc_lo, s2, v6, vcc_lo
	s_waitcnt vmcnt(0)
	v_mul_f32_e32 v9, v4, v2
	v_mul_f32_e32 v2, v3, v2
	v_fmac_f32_e32 v9, v3, v1
	v_fma_f32 v3, v1, v4, -v2
	v_cvt_f64_f32_e32 v[1:2], v9
	v_cvt_f64_f32_e32 v[3:4], v3
	v_mul_f64 v[1:2], v[1:2], s[0:1]
	v_mul_f64 v[3:4], v[3:4], s[0:1]
	v_cvt_f32_f64_e32 v1, v[1:2]
	v_cvt_f32_f64_e32 v2, v[3:4]
	global_store_dwordx2 v[5:6], v[1:2], off
	global_load_dwordx2 v[9:10], v[7:8], off offset:760
	ds_read2_b64 v[1:4], v0 offset0:95 offset1:122
	v_add_co_u32 v5, vcc_lo, v5, s3
	v_add_co_ci_u32_e32 v6, vcc_lo, s2, v6, vcc_lo
	s_waitcnt vmcnt(0) lgkmcnt(0)
	v_mul_f32_e32 v11, v2, v10
	v_mul_f32_e32 v10, v1, v10
	v_fmac_f32_e32 v11, v1, v9
	v_fma_f32 v9, v9, v2, -v10
	v_cvt_f64_f32_e32 v[1:2], v11
	v_cvt_f64_f32_e32 v[9:10], v9
	v_mul_f64 v[1:2], v[1:2], s[0:1]
	v_mul_f64 v[9:10], v[9:10], s[0:1]
	v_cvt_f32_f64_e32 v1, v[1:2]
	v_cvt_f32_f64_e32 v2, v[9:10]
	global_store_dwordx2 v[5:6], v[1:2], off
	global_load_dwordx2 v[1:2], v[7:8], off offset:976
	s_waitcnt vmcnt(0)
	v_mul_f32_e32 v9, v4, v2
	v_mul_f32_e32 v2, v3, v2
	v_fmac_f32_e32 v9, v3, v1
	v_fma_f32 v3, v1, v4, -v2
	v_cvt_f64_f32_e32 v[1:2], v9
	v_cvt_f64_f32_e32 v[3:4], v3
	v_mul_f64 v[1:2], v[1:2], s[0:1]
	v_mul_f64 v[3:4], v[3:4], s[0:1]
	v_cvt_f32_f64_e32 v1, v[1:2]
	v_cvt_f32_f64_e32 v2, v[3:4]
	v_add_co_u32 v4, vcc_lo, v5, s3
	v_add_co_ci_u32_e32 v5, vcc_lo, s2, v6, vcc_lo
	global_store_dwordx2 v[4:5], v[1:2], off
	global_load_dwordx2 v[9:10], v[7:8], off offset:1192
	ds_read2_b64 v[0:3], v0 offset0:149 offset1:176
	v_add_co_u32 v4, vcc_lo, v4, s3
	v_add_co_ci_u32_e32 v5, vcc_lo, s2, v5, vcc_lo
	s_waitcnt vmcnt(0) lgkmcnt(0)
	v_mul_f32_e32 v6, v1, v10
	v_mul_f32_e32 v10, v0, v10
	v_fmac_f32_e32 v6, v0, v9
	v_fma_f32 v9, v9, v1, -v10
	v_cvt_f64_f32_e32 v[0:1], v6
	v_cvt_f64_f32_e32 v[9:10], v9
	v_mul_f64 v[0:1], v[0:1], s[0:1]
	v_mul_f64 v[9:10], v[9:10], s[0:1]
	v_cvt_f32_f64_e32 v0, v[0:1]
	v_cvt_f32_f64_e32 v1, v[9:10]
	global_store_dwordx2 v[4:5], v[0:1], off
	global_load_dwordx2 v[0:1], v[7:8], off offset:1408
	s_waitcnt vmcnt(0)
	v_mul_f32_e32 v6, v3, v1
	v_mul_f32_e32 v1, v2, v1
	v_fmac_f32_e32 v6, v2, v0
	v_fma_f32 v2, v0, v3, -v1
	v_cvt_f64_f32_e32 v[0:1], v6
	v_cvt_f64_f32_e32 v[2:3], v2
	v_mul_f64 v[0:1], v[0:1], s[0:1]
	v_mul_f64 v[2:3], v[2:3], s[0:1]
	v_cvt_f32_f64_e32 v0, v[0:1]
	v_cvt_f32_f64_e32 v1, v[2:3]
	v_add_co_u32 v2, vcc_lo, v4, s3
	v_add_co_ci_u32_e32 v3, vcc_lo, s2, v5, vcc_lo
	global_store_dwordx2 v[2:3], v[0:1], off
.LBB0_15:
	s_endpgm
	.section	.rodata,"a",@progbits
	.p2align	6, 0x0
	.amdhsa_kernel bluestein_single_fwd_len459_dim1_sp_op_CI_CI
		.amdhsa_group_segment_fixed_size 18360
		.amdhsa_private_segment_fixed_size 8
		.amdhsa_kernarg_size 104
		.amdhsa_user_sgpr_count 6
		.amdhsa_user_sgpr_private_segment_buffer 1
		.amdhsa_user_sgpr_dispatch_ptr 0
		.amdhsa_user_sgpr_queue_ptr 0
		.amdhsa_user_sgpr_kernarg_segment_ptr 1
		.amdhsa_user_sgpr_dispatch_id 0
		.amdhsa_user_sgpr_flat_scratch_init 0
		.amdhsa_user_sgpr_private_segment_size 0
		.amdhsa_wavefront_size32 1
		.amdhsa_uses_dynamic_stack 0
		.amdhsa_system_sgpr_private_segment_wavefront_offset 1
		.amdhsa_system_sgpr_workgroup_id_x 1
		.amdhsa_system_sgpr_workgroup_id_y 0
		.amdhsa_system_sgpr_workgroup_id_z 0
		.amdhsa_system_sgpr_workgroup_info 0
		.amdhsa_system_vgpr_workitem_id 0
		.amdhsa_next_free_vgpr 256
		.amdhsa_next_free_sgpr 20
		.amdhsa_reserve_vcc 1
		.amdhsa_reserve_flat_scratch 0
		.amdhsa_float_round_mode_32 0
		.amdhsa_float_round_mode_16_64 0
		.amdhsa_float_denorm_mode_32 3
		.amdhsa_float_denorm_mode_16_64 3
		.amdhsa_dx10_clamp 1
		.amdhsa_ieee_mode 1
		.amdhsa_fp16_overflow 0
		.amdhsa_workgroup_processor_mode 1
		.amdhsa_memory_ordered 1
		.amdhsa_forward_progress 0
		.amdhsa_shared_vgpr_count 0
		.amdhsa_exception_fp_ieee_invalid_op 0
		.amdhsa_exception_fp_denorm_src 0
		.amdhsa_exception_fp_ieee_div_zero 0
		.amdhsa_exception_fp_ieee_overflow 0
		.amdhsa_exception_fp_ieee_underflow 0
		.amdhsa_exception_fp_ieee_inexact 0
		.amdhsa_exception_int_div_zero 0
	.end_amdhsa_kernel
	.text
.Lfunc_end0:
	.size	bluestein_single_fwd_len459_dim1_sp_op_CI_CI, .Lfunc_end0-bluestein_single_fwd_len459_dim1_sp_op_CI_CI
                                        ; -- End function
	.section	.AMDGPU.csdata,"",@progbits
; Kernel info:
; codeLenInByte = 17392
; NumSgprs: 22
; NumVgprs: 256
; ScratchSize: 8
; MemoryBound: 0
; FloatMode: 240
; IeeeMode: 1
; LDSByteSize: 18360 bytes/workgroup (compile time only)
; SGPRBlocks: 2
; VGPRBlocks: 31
; NumSGPRsForWavesPerEU: 22
; NumVGPRsForWavesPerEU: 256
; Occupancy: 4
; WaveLimiterHint : 1
; COMPUTE_PGM_RSRC2:SCRATCH_EN: 1
; COMPUTE_PGM_RSRC2:USER_SGPR: 6
; COMPUTE_PGM_RSRC2:TRAP_HANDLER: 0
; COMPUTE_PGM_RSRC2:TGID_X_EN: 1
; COMPUTE_PGM_RSRC2:TGID_Y_EN: 0
; COMPUTE_PGM_RSRC2:TGID_Z_EN: 0
; COMPUTE_PGM_RSRC2:TIDIG_COMP_CNT: 0
	.text
	.p2alignl 6, 3214868480
	.fill 48, 4, 3214868480
	.type	__hip_cuid_5d9f2b30ebcbd33d,@object ; @__hip_cuid_5d9f2b30ebcbd33d
	.section	.bss,"aw",@nobits
	.globl	__hip_cuid_5d9f2b30ebcbd33d
__hip_cuid_5d9f2b30ebcbd33d:
	.byte	0                               ; 0x0
	.size	__hip_cuid_5d9f2b30ebcbd33d, 1

	.ident	"AMD clang version 19.0.0git (https://github.com/RadeonOpenCompute/llvm-project roc-6.4.0 25133 c7fe45cf4b819c5991fe208aaa96edf142730f1d)"
	.section	".note.GNU-stack","",@progbits
	.addrsig
	.addrsig_sym __hip_cuid_5d9f2b30ebcbd33d
	.amdgpu_metadata
---
amdhsa.kernels:
  - .args:
      - .actual_access:  read_only
        .address_space:  global
        .offset:         0
        .size:           8
        .value_kind:     global_buffer
      - .actual_access:  read_only
        .address_space:  global
        .offset:         8
        .size:           8
        .value_kind:     global_buffer
      - .actual_access:  read_only
        .address_space:  global
        .offset:         16
        .size:           8
        .value_kind:     global_buffer
      - .actual_access:  read_only
        .address_space:  global
        .offset:         24
        .size:           8
        .value_kind:     global_buffer
      - .actual_access:  read_only
        .address_space:  global
        .offset:         32
        .size:           8
        .value_kind:     global_buffer
      - .offset:         40
        .size:           8
        .value_kind:     by_value
      - .address_space:  global
        .offset:         48
        .size:           8
        .value_kind:     global_buffer
      - .address_space:  global
        .offset:         56
        .size:           8
        .value_kind:     global_buffer
      - .address_space:  global
        .offset:         64
        .size:           8
        .value_kind:     global_buffer
      - .address_space:  global
        .offset:         72
        .size:           8
        .value_kind:     global_buffer
      - .offset:         80
        .size:           4
        .value_kind:     by_value
      - .address_space:  global
        .offset:         88
        .size:           8
        .value_kind:     global_buffer
      - .address_space:  global
        .offset:         96
        .size:           8
        .value_kind:     global_buffer
    .group_segment_fixed_size: 18360
    .kernarg_segment_align: 8
    .kernarg_segment_size: 104
    .language:       OpenCL C
    .language_version:
      - 2
      - 0
    .max_flat_workgroup_size: 255
    .name:           bluestein_single_fwd_len459_dim1_sp_op_CI_CI
    .private_segment_fixed_size: 8
    .sgpr_count:     22
    .sgpr_spill_count: 0
    .symbol:         bluestein_single_fwd_len459_dim1_sp_op_CI_CI.kd
    .uniform_work_group_size: 1
    .uses_dynamic_stack: false
    .vgpr_count:     256
    .vgpr_spill_count: 1
    .wavefront_size: 32
    .workgroup_processor_mode: 1
amdhsa.target:   amdgcn-amd-amdhsa--gfx1030
amdhsa.version:
  - 1
  - 2
...

	.end_amdgpu_metadata
